;; amdgpu-corpus repo=ROCm/aiter kind=harvested arch=n/a opt=n/a

/root/src/amdgpu-assembly/repos/ROCm__aiter/hsa/gfx950/fmoe/gelu/fmoe_bf16_pertokenFp8_g1u1_multix_gelu_1tg_32x512.co:	file format elf64-amdgpu

Disassembly of section .text:

0000000000002e00 <_ZN5aiter49fmoe_bf16_pertokenFp8_g1u1_multix_gelu_1tg_32x512E>:
	s_and_b32 s1, s1, 0xffff                                   // 000000002E00: 8601FF01 0000FFFF
	s_load_dwordx2 s[8:9], s[0:1], 0x0                         // 000000002E08: C0060200 00000000
	s_load_dwordx2 s[20:21], s[0:1], 0x10                      // 000000002E10: C0060500 00000010
	s_load_dwordx2 s[24:25], s[0:1], 0x20                      // 000000002E18: C0060600 00000020
	s_load_dwordx2 s[50:51], s[0:1], 0x30                      // 000000002E20: C0060C80 00000030
	s_load_dwordx2 s[12:13], s[0:1], 0x40                      // 000000002E28: C0060300 00000040
	s_load_dwordx2 s[28:29], s[0:1], 0x50                      // 000000002E30: C0060700 00000050
	s_load_dwordx2 s[32:33], s[0:1], 0x60                      // 000000002E38: C0060800 00000060
	s_load_dwordx2 s[16:17], s[0:1], 0x70                      // 000000002E40: C0060400 00000070
	s_load_dwordx2 s[36:37], s[0:1], 0x80                      // 000000002E48: C0060900 00000080
	s_load_dwordx2 s[44:45], s[0:1], 0x90                      // 000000002E50: C0060B00 00000090
	s_load_dwordx2 s[40:41], s[0:1], 0xa0                      // 000000002E58: C0060A00 000000A0
	s_load_dwordx2 s[46:47], s[0:1], 0xb0                      // 000000002E60: C0060B80 000000B0
	s_load_dword s64, s[0:1], 0xc0                             // 000000002E68: C0021000 000000C0
	s_load_dword s65, s[0:1], 0xd0                             // 000000002E70: C0021040 000000D0
	s_load_dword s66, s[0:1], 0xe0                             // 000000002E78: C0021080 000000E0
	s_load_dword s67, s[0:1], 0xf0                             // 000000002E80: C00210C0 000000F0
	s_load_dword s68, s[0:1], 0x100                            // 000000002E88: C0021100 00000100
	s_load_dword s69, s[0:1], 0x110                            // 000000002E90: C0021140 00000110
	s_load_dword s70, s[0:1], 0x120                            // 000000002E98: C0021180 00000120
	s_load_dword s71, s[0:1], 0x130                            // 000000002EA0: C00211C0 00000130
	s_load_dword s72, s[0:1], 0x140                            // 000000002EA8: C0021200 00000140
	s_load_dword s73, s[0:1], 0x150                            // 000000002EB0: C0021240 00000150
	s_load_dword s74, s[0:1], 0x160                            // 000000002EB8: C0021280 00000160
	s_load_dword s75, s[0:1], 0x170                            // 000000002EC0: C00212C0 00000170
	s_load_dword s76, s[0:1], 0x180                            // 000000002EC8: C0021300 00000180
	s_load_dword s63, s[0:1], 0x190                            // 000000002ED0: C0020FC0 00000190
	v_lshrrev_b32_e32 v1, 10, v0                               // 000000002ED8: 2002008A
	v_lshrrev_b32_e32 v2, 10, v1                               // 000000002EDC: 2004028A
	v_and_b32_e32 v2, 0x3ff, v2                                // 000000002EE0: 260404FF 000003FF
	v_and_b32_e32 v1, 0x3ff, v1                                // 000000002EE8: 260202FF 000003FF
	v_and_b32_e32 v0, 0x3ff, v0                                // 000000002EF0: 260000FF 000003FF
	v_lshrrev_b32_e32 v3, 6, v0                                // 000000002EF8: 20060086
	v_and_b32_e32 v0, 63, v0                                   // 000000002EFC: 260000BF
	s_mov_b32 s2, s2                                           // 000000002F00: BE820002
	s_mov_b32 s3, s3                                           // 000000002F04: BE830003
	s_mov_b32 s4, s4                                           // 000000002F08: BE840004
	v_readfirstlane_b32 s7, v3                                 // 000000002F0C: 7E0E0503
	s_waitcnt lgkmcnt(0)                                       // 000000002F10: BF8CC07F
	s_and_b32 s51, s51, 0xffff                                 // 000000002F14: 8633FF33 0000FFFF
	s_load_dword s50, s[50:51], 0x0                            // 000000002F1C: C0020C99 00000000
	s_and_b32 s45, s45, 0xffff                                 // 000000002F24: 862DFF2D 0000FFFF
	s_and_b32 s47, s47, 0xffff                                 // 000000002F2C: 862FFF2F 0000FFFF
	s_and_b32 s9, s9, 0xffff                                   // 000000002F34: 8609FF09 0000FFFF
	s_mul_i32 s60, s66, s68                                    // 000000002F3C: 923C4442
	s_mul_i32 s60, s63, s60                                    // 000000002F40: 923C3C3F
	s_mul_i32 s61, s66, 4                                      // 000000002F44: 923D8442
	s_mul_i32 s61, s63, s61                                    // 000000002F48: 923D3D3F
	s_mov_b32 s22, s60                                         // 000000002F4C: BE96003C
	s_mov_b32 s26, -16                                         // 000000002F50: BE9A00D0
	s_mov_b32 s14, -16                                         // 000000002F54: BE8E00D0
	s_mov_b32 s42, -16                                         // 000000002F58: BEAA00D0
	s_mov_b32 s30, s61                                         // 000000002F5C: BE9E003D
	s_mov_b32 s34, 0x800                                       // 000000002F60: BEA200FF 00000800
	s_mov_b32 s38, 0x800                                       // 000000002F68: BEA600FF 00000800
	s_mov_b32 s18, -16                                         // 000000002F70: BE9200D0
	s_mov_b32 s23, 0x20000                                     // 000000002F74: BE9700FF 00020000
	s_mov_b32 s27, 0x20000                                     // 000000002F7C: BE9B00FF 00020000
	s_mov_b32 s15, 0x20000                                     // 000000002F84: BE8F00FF 00020000
	s_mov_b32 s43, 0x20000                                     // 000000002F8C: BEAB00FF 00020000
	s_mov_b32 s31, 0x20000                                     // 000000002F94: BE9F00FF 00020000
	s_mov_b32 s35, 0x20000                                     // 000000002F9C: BEA300FF 00020000
	s_mov_b32 s39, 0x20000                                     // 000000002FA4: BEA700FF 00020000
	s_mov_b32 s19, 0x20000                                     // 000000002FAC: BE9300FF 00020000
	s_and_b32 s21, s21, 0xffff                                 // 000000002FB4: 8615FF15 0000FFFF
	s_and_b32 s25, s25, 0xffff                                 // 000000002FBC: 8619FF19 0000FFFF
	s_and_b32 s13, s13, 0xffff                                 // 000000002FC4: 860DFF0D 0000FFFF
	s_and_b32 s41, s41, 0xffff                                 // 000000002FCC: 8629FF29 0000FFFF
	s_and_b32 s29, s29, 0xffff                                 // 000000002FD4: 861DFF1D 0000FFFF
	s_and_b32 s33, s33, 0xffff                                 // 000000002FDC: 8621FF21 0000FFFF
	s_and_b32 s37, s37, 0xffff                                 // 000000002FE4: 8625FF25 0000FFFF
	s_and_b32 s17, s17, 0xffff                                 // 000000002FEC: 8611FF11 0000FFFF
	s_or_b32 s21, s21, 0x40000                                 // 000000002FF4: 8715FF15 00040000
	s_or_b32 s25, s25, 0x40000                                 // 000000002FFC: 8719FF19 00040000
	s_or_b32 s13, s13, 0x40000                                 // 000000003004: 870DFF0D 00040000
	s_or_b32 s41, s41, 0x40000                                 // 00000000300C: 8729FF29 00040000
	s_or_b32 s29, s29, 0x40000                                 // 000000003014: 871DFF1D 00040000
	s_or_b32 s33, s33, 0x40000                                 // 00000000301C: 8721FF21 00040000
	s_or_b32 s37, s37, 0x40000                                 // 000000003024: 8725FF25 00040000
	s_or_b32 s17, s17, 0x40000                                 // 00000000302C: 8711FF11 00040000
	v_accvgpr_write_b32 a255, 0                                // 000000003034: D3D940FF 18000080
	v_mov_b32_e32 v255, 0                                      // 00000000303C: 7FFE0280
	s_waitcnt lgkmcnt(0)                                       // 000000003040: BF8CC07F
	s_mul_i32 s60, s3, 32                                      // 000000003044: 923CA003
	s_cmp_lt_i32 s60, s50                                      // 000000003048: BF04323C
	s_cbranch_scc0 label_2941                                  // 00000000304C: BF8428AD
	s_mov_b32 s80, 0                                           // 000000003050: BED00080
	s_mov_b32 s81, s64                                         // 000000003054: BED10040
	s_mul_i32 s60, s3, 4                                       // 000000003058: 923C8403
	s_add_u32 s46, s60, s46                                    // 00000000305C: 802E2E3C
	s_addc_u32 s47, 0, s47                                     // 000000003060: 822F2F80
	s_load_dword s5, s[46:47], 0x0                             // 000000003064: C0020157 00000000
	s_mul_i32 s60, s3, 32                                      // 00000000306C: 923CA003
	s_mul_i32 s60, 4, s60                                      // 000000003070: 923C3C84
	v_and_b32_e32 v52, 15, v0                                  // 000000003074: 2668008F
	v_lshlrev_b32_e32 v52, 2, v52                              // 000000003078: 24686882
	v_add_u32_e32 v52, s60, v52                                // 00000000307C: 6868683C
	v_mov_b32_e32 v53, 0                                       // 000000003080: 7E6A0280
	global_load_dword v6, v52, s[44:45]                        // 000000003084: DC508000 062C0034
	v_add_u32_e32 v52, 64, v52                                 // 00000000308C: 686868C0
	global_load_dword v7, v52, s[44:45]                        // 000000003090: DC508000 072C0034
	s_mul_i32 s60, s3, 32                                      // 000000003098: 923CA003
	s_add_u32 s60, s7, s60                                     // 00000000309C: 803C3C07
	s_mul_i32 s60, 4, s60                                      // 0000000030A0: 923C3C84
	s_add_u32 s44, s60, s44                                    // 0000000030A4: 802C2C3C
	s_addc_u32 s45, 0, s45                                     // 0000000030A8: 822D2D80
	s_load_dword s82, s[44:45], 0x0                            // 0000000030AC: C0021496 00000000
	s_load_dword s83, s[44:45], 0x10                           // 0000000030B4: C00214D6 00000010
	s_load_dword s84, s[44:45], 0x20                           // 0000000030BC: C0021516 00000020
	s_load_dword s85, s[44:45], 0x30                           // 0000000030C4: C0021556 00000030
	s_load_dword s86, s[44:45], 0x40                           // 0000000030CC: C0021596 00000040
	s_load_dword s87, s[44:45], 0x50                           // 0000000030D4: C00215D6 00000050
	s_load_dword s88, s[44:45], 0x60                           // 0000000030DC: C0021616 00000060
	s_load_dword s89, s[44:45], 0x70                           // 0000000030E4: C0021656 00000070
	s_waitcnt lgkmcnt(0)                                       // 0000000030EC: BF8CC07F
	v_lshlrev_b32_e32 v52, 2, v0                               // 0000000030F0: 24680082
	s_lshr_b32 s61, s82, 24                                    // 0000000030F4: 8F3D9852
	s_mul_i32 s61, s61, s68                                    // 0000000030F8: 923D443D
	s_mul_i32 s61, s61, s66                                    // 0000000030FC: 923D423D
	s_and_b32 s82, s82, 0xffffff                               // 000000003100: 8652FF52 00FFFFFF
	s_mul_i32 s60, s82, s68                                    // 000000003108: 923C4452
	s_add_u32 s60, s61, s60                                    // 00000000310C: 803C3C3D
	v_add_u32_e64 v26, v52, s60                                // 000000003110: D134001A 00007934
	s_lshr_b32 s61, s83, 24                                    // 000000003118: 8F3D9853
	s_mul_i32 s61, s61, s68                                    // 00000000311C: 923D443D
	s_mul_i32 s61, s61, s66                                    // 000000003120: 923D423D
	s_and_b32 s83, s83, 0xffffff                               // 000000003124: 8653FF53 00FFFFFF
	s_mul_i32 s60, s83, s68                                    // 00000000312C: 923C4453
	s_add_u32 s60, s61, s60                                    // 000000003130: 803C3C3D
	v_add_u32_e64 v27, v52, s60                                // 000000003134: D134001B 00007934
	s_lshr_b32 s61, s84, 24                                    // 00000000313C: 8F3D9854
	s_mul_i32 s61, s61, s68                                    // 000000003140: 923D443D
	s_mul_i32 s61, s61, s66                                    // 000000003144: 923D423D
	s_and_b32 s84, s84, 0xffffff                               // 000000003148: 8654FF54 00FFFFFF
	s_mul_i32 s60, s84, s68                                    // 000000003150: 923C4454
	s_add_u32 s60, s61, s60                                    // 000000003154: 803C3C3D
	v_add_u32_e64 v28, v52, s60                                // 000000003158: D134001C 00007934
	s_lshr_b32 s61, s85, 24                                    // 000000003160: 8F3D9855
	s_mul_i32 s61, s61, s68                                    // 000000003164: 923D443D
	s_mul_i32 s61, s61, s66                                    // 000000003168: 923D423D
	s_and_b32 s85, s85, 0xffffff                               // 00000000316C: 8655FF55 00FFFFFF
	s_mul_i32 s60, s85, s68                                    // 000000003174: 923C4455
	s_add_u32 s60, s61, s60                                    // 000000003178: 803C3C3D
	v_add_u32_e64 v29, v52, s60                                // 00000000317C: D134001D 00007934
	s_lshr_b32 s61, s86, 24                                    // 000000003184: 8F3D9856
	s_mul_i32 s61, s61, s68                                    // 000000003188: 923D443D
	s_mul_i32 s61, s61, s66                                    // 00000000318C: 923D423D
	s_and_b32 s86, s86, 0xffffff                               // 000000003190: 8656FF56 00FFFFFF
	s_mul_i32 s60, s86, s68                                    // 000000003198: 923C4456
	s_add_u32 s60, s61, s60                                    // 00000000319C: 803C3C3D
	v_add_u32_e64 v30, v52, s60                                // 0000000031A0: D134001E 00007934
	s_lshr_b32 s61, s87, 24                                    // 0000000031A8: 8F3D9857
	s_mul_i32 s61, s61, s68                                    // 0000000031AC: 923D443D
	s_mul_i32 s61, s61, s66                                    // 0000000031B0: 923D423D
	s_and_b32 s87, s87, 0xffffff                               // 0000000031B4: 8657FF57 00FFFFFF
	s_mul_i32 s60, s87, s68                                    // 0000000031BC: 923C4457
	s_add_u32 s60, s61, s60                                    // 0000000031C0: 803C3C3D
	v_add_u32_e64 v31, v52, s60                                // 0000000031C4: D134001F 00007934
	s_lshr_b32 s61, s88, 24                                    // 0000000031CC: 8F3D9858
	s_mul_i32 s61, s61, s68                                    // 0000000031D0: 923D443D
	s_mul_i32 s61, s61, s66                                    // 0000000031D4: 923D423D
	s_and_b32 s88, s88, 0xffffff                               // 0000000031D8: 8658FF58 00FFFFFF
	s_mul_i32 s60, s88, s68                                    // 0000000031E0: 923C4458
	s_add_u32 s60, s61, s60                                    // 0000000031E4: 803C3C3D
	v_add_u32_e64 v32, v52, s60                                // 0000000031E8: D1340020 00007934
	s_lshr_b32 s61, s89, 24                                    // 0000000031F0: 8F3D9859
	s_mul_i32 s61, s61, s68                                    // 0000000031F4: 923D443D
	s_mul_i32 s61, s61, s66                                    // 0000000031F8: 923D423D
	s_and_b32 s89, s89, 0xffffff                               // 0000000031FC: 8659FF59 00FFFFFF
	s_mul_i32 s60, s89, s68                                    // 000000003204: 923C4459
	s_add_u32 s60, s61, s60                                    // 000000003208: 803C3C3D
	v_add_u32_e64 v33, v52, s60                                // 00000000320C: D1340021 00007934
	v_lshlrev_b32_e32 v52, 2, v0                               // 000000003214: 24680082
	s_mul_i32 s60, s82, s71                                    // 000000003218: 923C4752
	v_add_u32_e64 v80, v52, s60                                // 00000000321C: D1340050 00007934
	v_mov_b32_e32 v81, 0                                       // 000000003224: 7EA20280
	s_mul_i32 s60, s83, s71                                    // 000000003228: 923C4753
	v_add_u32_e64 v82, v52, s60                                // 00000000322C: D1340052 00007934
	v_mov_b32_e32 v83, 0                                       // 000000003234: 7EA60280
	s_mul_i32 s60, s84, s71                                    // 000000003238: 923C4754
	v_add_u32_e64 v84, v52, s60                                // 00000000323C: D1340054 00007934
	v_mov_b32_e32 v85, 0                                       // 000000003244: 7EAA0280
	s_mul_i32 s60, s85, s71                                    // 000000003248: 923C4755
	v_add_u32_e64 v86, v52, s60                                // 00000000324C: D1340056 00007934
	v_mov_b32_e32 v87, 0                                       // 000000003254: 7EAE0280
	s_mul_i32 s60, s86, s71                                    // 000000003258: 923C4756
	v_add_u32_e64 v88, v52, s60                                // 00000000325C: D1340058 00007934
	v_mov_b32_e32 v89, 0                                       // 000000003264: 7EB20280
	s_mul_i32 s60, s87, s71                                    // 000000003268: 923C4757
	v_add_u32_e64 v90, v52, s60                                // 00000000326C: D134005A 00007934
	v_mov_b32_e32 v91, 0                                       // 000000003274: 7EB60280
	s_mul_i32 s60, s88, s71                                    // 000000003278: 923C4758
	v_add_u32_e64 v92, v52, s60                                // 00000000327C: D134005C 00007934
	v_mov_b32_e32 v93, 0                                       // 000000003284: 7EBA0280
	s_mul_i32 s60, s89, s71                                    // 000000003288: 923C4759
	v_add_u32_e64 v94, v52, s60                                // 00000000328C: D134005E 00007934
	v_mov_b32_e32 v95, 0                                       // 000000003294: 7EBE0280
	s_mul_i32 s60, s7, 0x820                                   // 000000003298: 923CFF07 00000820
	s_add_u32 s50, 0, s60                                      // 0000000032A0: 80323C80
	s_add_u32 s51, 0x2080, s50                                 // 0000000032A4: 803332FF 00002080
	v_lshrrev_b32_e32 v52, 4, v0                               // 0000000032AC: 20680084
	v_lshlrev_b32_e32 v53, 2, v52                              // 0000000032B0: 246A6882
	v_and_b32_e32 v52, 15, v0                                  // 0000000032B4: 2668008F
	v_lshrrev_b32_e32 v54, 2, v52                              // 0000000032B8: 206C6882
	v_lshlrev_b32_e32 v54, 6, v54                              // 0000000032BC: 246C6C86
	v_add_u32_e32 v53, v54, v53                                // 0000000032C0: 686A6B36
	v_and_b32_e32 v52, 3, v0                                   // 0000000032C4: 26680083
	v_mul_i32_i24_e32 v54, 0x208, v52                          // 0000000032C8: 0C6C68FF 00000208
	v_add_u32_e32 v53, v54, v53                                // 0000000032D0: 686A6B36
	v_lshlrev_b32_e32 v2, 2, v53                               // 0000000032D4: 24046A82
	s_mul_i32 s60, s2, 0x200                                   // 0000000032D8: 923CFF02 00000200
	s_mul_i32 s60, s60, s69                                    // 0000000032E0: 923C453C
	s_mul_i32 s61, s5, s72                                     // 0000000032E4: 923D4805
	s_add_u32 s60, s61, s60                                    // 0000000032E8: 803C3C3D
	s_add_u32 s24, s60, s24                                    // 0000000032EC: 8018183C
	s_addc_u32 s25, 0, s25                                     // 0000000032F0: 82191980
	s_mul_i32 s60, s7, 16                                      // 0000000032F4: 923C9007
	s_mul_i32 s60, s60, s69                                    // 0000000032F8: 923C453C
	v_lshlrev_b32_e32 v34, 4, v0                               // 0000000032FC: 24440084
	v_add_u32_e32 v34, s60, v34                                // 000000003300: 6844443C
	s_mul_i32 s60, 64, s69                                     // 000000003304: 923C45C0
	v_add_u32_e32 v35, s60, v34                                // 000000003308: 6846443C
	v_add_u32_e32 v36, s60, v35                                // 00000000330C: 6848463C
	v_add_u32_e32 v37, s60, v36                                // 000000003310: 684A483C
	v_add_u32_e32 v38, s60, v37                                // 000000003314: 684C4A3C
	v_add_u32_e32 v39, s60, v38                                // 000000003318: 684E4C3C
	v_add_u32_e32 v40, s60, v39                                // 00000000331C: 68504E3C
	v_add_u32_e32 v41, s60, v40                                // 000000003320: 6852503C
	s_mov_b32 s92, s24                                         // 000000003324: BEDC0018
	s_mov_b32 s93, s25                                         // 000000003328: BEDD0019
	s_mov_b32 s94, s26                                         // 00000000332C: BEDE001A
	s_mov_b32 s95, s27                                         // 000000003330: BEDF001B
	s_mul_i32 s60, s69, s65                                    // 000000003334: 923C4145
	s_add_u32 s92, s60, s92                                    // 000000003338: 805C5C3C
	s_addc_u32 s93, 0, s93                                     // 00000000333C: 825D5D80
	s_mul_i32 s60, s2, 0x2000                                  // 000000003340: 923CFF02 00002000
	s_mul_i32 s61, s5, s73                                     // 000000003348: 923D4905
	s_add_u32 s60, s61, s60                                    // 00000000334C: 803C3C3D
	s_add_u32 s12, s60, s12                                    // 000000003350: 800C0C3C
	s_addc_u32 s13, 0, s13                                     // 000000003354: 820D0D80
	s_mul_i32 s60, s7, 16                                      // 000000003358: 923C9007
	s_mul_i32 s60, s60, s70                                    // 00000000335C: 923C463C
	v_lshlrev_b32_e32 v42, 4, v0                               // 000000003360: 24540084
	v_add_u32_e32 v42, s60, v42                                // 000000003364: 6854543C
	s_mul_i32 s60, 64, s70                                     // 000000003368: 923C46C0
	v_add_u32_e32 v43, s60, v42                                // 00000000336C: 6856543C
	v_add_u32_e32 v44, s60, v43                                // 000000003370: 6858563C
	v_add_u32_e32 v45, s60, v44                                // 000000003374: 685A583C
	s_mul_i32 s60, s70, 0x100                                  // 000000003378: 923CFF46 00000100
	s_mov_b32 s78, 0x400                                       // 000000003380: BECE00FF 00000400
	s_mul_i32 s61, s78, 7                                      // 000000003388: 923D874E
	s_sub_u32 s56, s60, s61                                    // 00000000338C: 80B83D3C
	s_mul_i32 s60, s3, 32                                      // 000000003390: 923CA003
	s_mul_i32 s60, 4, s60                                      // 000000003394: 923C3C84
	s_add_u32 s40, s60, s40                                    // 000000003398: 8028283C
	s_addc_u32 s41, 0, s41                                     // 00000000339C: 82292980
	v_and_b32_e32 v52, 15, v0                                  // 0000000033A0: 2668008F
	v_lshlrev_b32_e32 v8, 2, v52                               // 0000000033A4: 24106882
	v_add_u32_e32 v9, 64, v8                                   // 0000000033A8: 681210C0
	v_lshrrev_b32_e32 v52, 4, v0                               // 0000000033AC: 20680084
	v_lshlrev_b32_e32 v53, 2, v52                              // 0000000033B0: 246A6882
	v_and_b32_e32 v52, 15, v0                                  // 0000000033B4: 2668008F
	v_lshrrev_b32_e32 v54, 2, v52                              // 0000000033B8: 206C6882
	v_lshlrev_b32_e32 v54, 6, v54                              // 0000000033BC: 246C6C86
	v_add_u32_e32 v53, v54, v53                                // 0000000033C0: 686A6B36
	v_and_b32_e32 v52, 3, v0                                   // 0000000033C4: 26680083
	v_add_u32_e32 v53, v52, v53                                // 0000000033C8: 686A6B34
	v_lshlrev_b32_e32 v10, 2, v53                              // 0000000033CC: 24146A82
	v_add_u32_e32 v11, 0x400, v10                              // 0000000033D0: 681614FF 00000400
	s_mul_i32 s60, s7, 16                                      // 0000000033D8: 923C9007
	s_mul_i32 s60, s60, 4                                      // 0000000033DC: 923C843C
	v_add_u32_e32 v10, s60, v10                                // 0000000033E0: 6814143C
	v_add_u32_e32 v11, s60, v11                                // 0000000033E4: 6816163C
	v_mov_b32_e32 v5, v10                                      // 0000000033E8: 7E0A030A
	s_mul_i32 s60, s2, 0x200                                   // 0000000033EC: 923CFF02 00000200
	s_mul_i32 s60, s60, 4                                      // 0000000033F4: 923C843C
	s_mul_i32 s61, s5, s74                                     // 0000000033F8: 923D4A05
	s_add_u32 s61, s61, s60                                    // 0000000033FC: 803D3C3D
	s_mul_i32 s62, s5, s76                                     // 000000003400: 923E4C05
	s_add_u32 s62, s62, s60                                    // 000000003404: 803E3C3E
	s_add_u32 s32, s61, s32                                    // 000000003408: 8020203D
	s_addc_u32 s33, 0, s33                                     // 00000000340C: 82212180
	s_add_u32 s36, s62, s36                                    // 000000003410: 8024243E
	s_addc_u32 s37, 0, s37                                     // 000000003414: 82252580
	s_mul_i32 s60, s5, s75                                     // 000000003418: 923C4B05
	s_add_u32 s16, s60, s16                                    // 00000000341C: 8010103C
	s_addc_u32 s17, 0, s17                                     // 000000003420: 82111180
	s_mov_b32 s57, 0x100                                       // 000000003424: BEB900FF 00000100
	s_mov_b32 s58, 0x1000                                      // 00000000342C: BEBA00FF 00001000
	s_mov_b32 s79, 0x400                                       // 000000003434: BECF00FF 00000400
	s_mov_b32 s59, 0x200                                       // 00000000343C: BEBB00FF 00000200
	s_mov_b32 s90, s58                                         // 000000003444: BEDA003A
	s_mov_b32 s52, 0x7060302                                   // 000000003448: BEB400FF 07060302
	s_mov_b32 s53, 0x400                                       // 000000003450: BEB500FF 00000400
	s_mov_b32 s54, 0x40100                                     // 000000003458: BEB600FF 00040100
	s_mov_b32 s55, 0x4020100                                   // 000000003460: BEB700FF 04020100
	s_mov_b32 s6, 0x3fb8aa3b                                   // 000000003468: BE8600FF 3FB8AA3B
	s_mov_b32 s77, 0xbd92220c                                  // 000000003470: BECD00FF BD92220C
	s_mov_b32 m0, s50                                          // 000000003478: BEFC0032
	v_mov_b32_e32 v1, 0xbfcc4231                               // 00000000347C: 7E0202FF BFCC4231
	v_mov_b32_e32 v47, 0xffff0000                              // 000000003484: 7E5E02FF FFFF0000
	v_mov_b32_e32 v48, 0x7fff0000                              // 00000000348C: 7E6002FF 7FFF0000
	v_mov_b32_e32 v49, 0x7fff                                  // 000000003494: 7E6202FF 00007FFF
	s_waitcnt vmcnt(0) expcnt(0) lgkmcnt(0)                    // 00000000349C: BF8C0000
	v_lshrrev_b32_e32 v52, 24, v6                              // 0000000034A0: 20680C98
	v_mul_i32_i24_e32 v52, s66, v52                            // 0000000034A4: 0C686842
	v_and_b32_e32 v53, 0xffffff, v6                            // 0000000034A8: 266A0CFF 00FFFFFF
	v_add_u32_e32 v6, v52, v53                                 // 0000000034B0: 680C6B34
	v_lshrrev_b32_e32 v52, 24, v7                              // 0000000034B4: 20680E98
	v_mul_i32_i24_e32 v52, s66, v52                            // 0000000034B8: 0C686842
	v_and_b32_e32 v53, 0xffffff, v7                            // 0000000034BC: 266A0EFF 00FFFFFF
	v_add_u32_e32 v7, v52, v53                                 // 0000000034C4: 680E6B34
	v_lshlrev_b32_e32 v6, 2, v6                                // 0000000034C8: 240C0C82
	v_lshlrev_b32_e32 v7, 2, v7                                // 0000000034CC: 240E0E82
	buffer_load_dword v14, v6, s[28:31], 0 offen               // 0000000034D0: E0501000 80070E06
	buffer_load_dword v15, v7, s[28:31], 0 offen               // 0000000034D8: E0501000 80070F07
	buffer_load_dword v16, v10, s[32:35], 0 offen              // 0000000034E0: E0501000 8008100A
	buffer_load_dword v17, v11, s[32:35], 0 offen              // 0000000034E8: E0501000 8008110B
	s_mul_i32 s60, 4, s65                                      // 0000000034F0: 923C4184
	s_add_u32 s32, s60, s32                                    // 0000000034F4: 8020203C
	s_addc_u32 s33, 0, s33                                     // 0000000034F8: 82212180
	buffer_load_dword v50, v10, s[32:35], 0 offen              // 0000000034FC: E0501000 8008320A
	buffer_load_dword v51, v11, s[32:35], 0 offen              // 000000003504: E0501000 8008330B
	buffer_load_dword v18, v10, s[36:39], 0 offen              // 00000000350C: E0501000 8009120A
	buffer_load_dword v19, v11, s[36:39], 0 offen              // 000000003514: E0501000 8009130B
	buffer_load_dword v20, v8, s[40:43], 0 offen               // 00000000351C: E0501000 800A1408
	buffer_load_dword v21, v9, s[40:43], 0 offen               // 000000003524: E0501000 800A1509
	buffer_load_dword v26, s[20:23], 0 offen lds               // 00000000352C: E0511000 8005001A
	s_add_u32 m0, 0x100, s50                                   // 000000003534: 807C32FF 00000100
	buffer_load_dword v27, s[20:23], 0 offen lds               // 00000000353C: E0511000 8005001B
	s_add_u32 m0, 0x200, s50                                   // 000000003544: 807C32FF 00000200
	buffer_load_dword v28, s[20:23], 0 offen lds               // 00000000354C: E0511000 8005001C
	s_add_u32 m0, 0x300, s50                                   // 000000003554: 807C32FF 00000300
	buffer_load_dword v29, s[20:23], 0 offen lds               // 00000000355C: E0511000 8005001D
	s_add_u32 m0, 0x400, s50                                   // 000000003564: 807C32FF 00000400
	buffer_load_dword v30, s[20:23], 0 offen lds               // 00000000356C: E0511000 8005001E
	s_add_u32 m0, 0x500, s50                                   // 000000003574: 807C32FF 00000500
	buffer_load_dword v31, s[20:23], 0 offen lds               // 00000000357C: E0511000 8005001F
	s_add_u32 m0, 0x600, s50                                   // 000000003584: 807C32FF 00000600
	buffer_load_dword v32, s[20:23], 0 offen lds               // 00000000358C: E0511000 80050020
	s_add_u32 m0, 0x700, s50                                   // 000000003594: 807C32FF 00000700
	buffer_load_dword v33, s[20:23], 0 offen lds               // 00000000359C: E0511000 80050021
	s_add_u32 m0, 0, s51                                       // 0000000035A4: 807C3380
	s_add_u32 s20, s57, s20                                    // 0000000035A8: 80141439
	s_addc_u32 s21, 0, s21                                     // 0000000035AC: 82151580
	buffer_load_dwordx4 a[0:3], v34, s[24:27], 0 offen         // 0000000035B0: E05C1000 80860022
	buffer_load_dwordx4 a[4:7], v34, s[24:27], 0 offen offset:1024// 0000000035B8: E05C1400 80860422
	buffer_load_dwordx4 a[8:11], v34, s[24:27], 0 offen offset:2048// 0000000035C0: E05C1800 80860822
	buffer_load_dwordx4 a[12:15], v34, s[24:27], 0 offen offset:3072// 0000000035C8: E05C1C00 80860C22
	buffer_load_dwordx4 a[16:19], v35, s[24:27], 0 offen       // 0000000035D0: E05C1000 80861023
	buffer_load_dwordx4 a[20:23], v35, s[24:27], 0 offen offset:1024// 0000000035D8: E05C1400 80861423
	buffer_load_dwordx4 a[24:27], v35, s[24:27], 0 offen offset:2048// 0000000035E0: E05C1800 80861823
	buffer_load_dwordx4 a[28:31], v35, s[24:27], 0 offen offset:3072// 0000000035E8: E05C1C00 80861C23
	buffer_load_dwordx4 a[32:35], v36, s[24:27], 0 offen       // 0000000035F0: E05C1000 80862024
	buffer_load_dwordx4 a[36:39], v36, s[24:27], 0 offen offset:1024// 0000000035F8: E05C1400 80862424
	buffer_load_dwordx4 a[40:43], v36, s[24:27], 0 offen offset:2048// 000000003600: E05C1800 80862824
	buffer_load_dwordx4 a[44:47], v36, s[24:27], 0 offen offset:3072// 000000003608: E05C1C00 80862C24
	buffer_load_dwordx4 a[48:51], v37, s[24:27], 0 offen       // 000000003610: E05C1000 80863025
	buffer_load_dwordx4 a[52:55], v37, s[24:27], 0 offen offset:1024// 000000003618: E05C1400 80863425
	buffer_load_dwordx4 a[56:59], v37, s[24:27], 0 offen offset:2048// 000000003620: E05C1800 80863825
	buffer_load_dwordx4 a[60:63], v37, s[24:27], 0 offen offset:3072// 000000003628: E05C1C00 80863C25
	buffer_load_dwordx4 a[64:67], v38, s[24:27], 0 offen       // 000000003630: E05C1000 80864026
	buffer_load_dwordx4 a[68:71], v38, s[24:27], 0 offen offset:1024// 000000003638: E05C1400 80864426
	buffer_load_dwordx4 a[72:75], v38, s[24:27], 0 offen offset:2048// 000000003640: E05C1800 80864826
	buffer_load_dwordx4 a[76:79], v38, s[24:27], 0 offen offset:3072// 000000003648: E05C1C00 80864C26
	buffer_load_dwordx4 a[80:83], v39, s[24:27], 0 offen       // 000000003650: E05C1000 80865027
	buffer_load_dwordx4 a[84:87], v39, s[24:27], 0 offen offset:1024// 000000003658: E05C1400 80865427
	buffer_load_dwordx4 a[88:91], v39, s[24:27], 0 offen offset:2048// 000000003660: E05C1800 80865827
	buffer_load_dwordx4 a[92:95], v39, s[24:27], 0 offen offset:3072// 000000003668: E05C1C00 80865C27
	buffer_load_dwordx4 a[96:99], v40, s[24:27], 0 offen       // 000000003670: E05C1000 80866028
	buffer_load_dwordx4 a[100:103], v40, s[24:27], 0 offen offset:1024// 000000003678: E05C1400 80866428
	buffer_load_dwordx4 a[104:107], v40, s[24:27], 0 offen offset:2048// 000000003680: E05C1800 80866828
	buffer_load_dwordx4 a[108:111], v40, s[24:27], 0 offen offset:3072// 000000003688: E05C1C00 80866C28
	buffer_load_dwordx4 a[112:115], v41, s[24:27], 0 offen     // 000000003690: E05C1000 80867029
	buffer_load_dwordx4 a[116:119], v41, s[24:27], 0 offen offset:1024// 000000003698: E05C1400 80867429
	buffer_load_dwordx4 a[120:123], v41, s[24:27], 0 offen offset:2048// 0000000036A0: E05C1800 80867829
	buffer_load_dwordx4 a[124:127], v41, s[24:27], 0 offen offset:3072// 0000000036A8: E05C1C00 80867C29
	s_add_u32 s24, s58, s24                                    // 0000000036B0: 8018183A
	s_addc_u32 s25, 0, s25                                     // 0000000036B4: 82191980
	v_mov_b32_e32 v128, 0                                      // 0000000036B8: 7F000280
	v_mov_b32_e32 v64, 0                                       // 0000000036BC: 7E800280
	v_mov_b32_e32 v129, 0                                      // 0000000036C0: 7F020280
	v_mov_b32_e32 v65, 0                                       // 0000000036C4: 7E820280
	v_mov_b32_e32 v130, 0                                      // 0000000036C8: 7F040280
	v_mov_b32_e32 v66, 0                                       // 0000000036CC: 7E840280
	v_mov_b32_e32 v131, 0                                      // 0000000036D0: 7F060280
	v_mov_b32_e32 v67, 0                                       // 0000000036D4: 7E860280
	v_mov_b32_e32 v132, 0                                      // 0000000036D8: 7F080280
	v_mov_b32_e32 v68, 0                                       // 0000000036DC: 7E880280
	v_mov_b32_e32 v133, 0                                      // 0000000036E0: 7F0A0280
	v_mov_b32_e32 v69, 0                                       // 0000000036E4: 7E8A0280
	v_mov_b32_e32 v134, 0                                      // 0000000036E8: 7F0C0280
	v_mov_b32_e32 v70, 0                                       // 0000000036EC: 7E8C0280
	v_mov_b32_e32 v135, 0                                      // 0000000036F0: 7F0E0280
	v_mov_b32_e32 v71, 0                                       // 0000000036F4: 7E8E0280
	v_mov_b32_e32 v136, 0                                      // 0000000036F8: 7F100280
	v_mov_b32_e32 v72, 0                                       // 0000000036FC: 7E900280
	v_mov_b32_e32 v137, 0                                      // 000000003700: 7F120280
	v_mov_b32_e32 v73, 0                                       // 000000003704: 7E920280
	v_mov_b32_e32 v138, 0                                      // 000000003708: 7F140280
	v_mov_b32_e32 v74, 0                                       // 00000000370C: 7E940280
	v_mov_b32_e32 v139, 0                                      // 000000003710: 7F160280
	v_mov_b32_e32 v75, 0                                       // 000000003714: 7E960280
	v_mov_b32_e32 v140, 0                                      // 000000003718: 7F180280
	v_mov_b32_e32 v76, 0                                       // 00000000371C: 7E980280
	v_mov_b32_e32 v141, 0                                      // 000000003720: 7F1A0280
	v_mov_b32_e32 v77, 0                                       // 000000003724: 7E9A0280
	v_mov_b32_e32 v142, 0                                      // 000000003728: 7F1C0280
	v_mov_b32_e32 v78, 0                                       // 00000000372C: 7E9C0280
	v_mov_b32_e32 v143, 0                                      // 000000003730: 7F1E0280
	v_mov_b32_e32 v79, 0                                       // 000000003734: 7E9E0280
	v_mov_b32_e32 v144, 0                                      // 000000003738: 7F200280
	v_mov_b32_e32 v80, 0                                       // 00000000373C: 7EA00280
	v_mov_b32_e32 v145, 0                                      // 000000003740: 7F220280
	v_mov_b32_e32 v81, 0                                       // 000000003744: 7EA20280
	v_mov_b32_e32 v146, 0                                      // 000000003748: 7F240280
	v_mov_b32_e32 v82, 0                                       // 00000000374C: 7EA40280
	v_mov_b32_e32 v147, 0                                      // 000000003750: 7F260280
	v_mov_b32_e32 v83, 0                                       // 000000003754: 7EA60280
	v_mov_b32_e32 v148, 0                                      // 000000003758: 7F280280
	v_mov_b32_e32 v84, 0                                       // 00000000375C: 7EA80280
	v_mov_b32_e32 v149, 0                                      // 000000003760: 7F2A0280
	v_mov_b32_e32 v85, 0                                       // 000000003764: 7EAA0280
	v_mov_b32_e32 v150, 0                                      // 000000003768: 7F2C0280
	v_mov_b32_e32 v86, 0                                       // 00000000376C: 7EAC0280
	v_mov_b32_e32 v151, 0                                      // 000000003770: 7F2E0280
	v_mov_b32_e32 v87, 0                                       // 000000003774: 7EAE0280
	v_mov_b32_e32 v152, 0                                      // 000000003778: 7F300280
	v_mov_b32_e32 v88, 0                                       // 00000000377C: 7EB00280
	v_mov_b32_e32 v153, 0                                      // 000000003780: 7F320280
	v_mov_b32_e32 v89, 0                                       // 000000003784: 7EB20280
	v_mov_b32_e32 v154, 0                                      // 000000003788: 7F340280
	v_mov_b32_e32 v90, 0                                       // 00000000378C: 7EB40280
	v_mov_b32_e32 v155, 0                                      // 000000003790: 7F360280
	v_mov_b32_e32 v91, 0                                       // 000000003794: 7EB60280
	v_mov_b32_e32 v156, 0                                      // 000000003798: 7F380280
	v_mov_b32_e32 v92, 0                                       // 00000000379C: 7EB80280
	v_mov_b32_e32 v157, 0                                      // 0000000037A0: 7F3A0280
	v_mov_b32_e32 v93, 0                                       // 0000000037A4: 7EBA0280
	v_mov_b32_e32 v158, 0                                      // 0000000037A8: 7F3C0280
	v_mov_b32_e32 v94, 0                                       // 0000000037AC: 7EBC0280
	v_mov_b32_e32 v159, 0                                      // 0000000037B0: 7F3E0280
	v_mov_b32_e32 v95, 0                                       // 0000000037B4: 7EBE0280
	v_mov_b32_e32 v160, 0                                      // 0000000037B8: 7F400280
	v_mov_b32_e32 v96, 0                                       // 0000000037BC: 7EC00280
	v_mov_b32_e32 v161, 0                                      // 0000000037C0: 7F420280
	v_mov_b32_e32 v97, 0                                       // 0000000037C4: 7EC20280
	v_mov_b32_e32 v162, 0                                      // 0000000037C8: 7F440280
	v_mov_b32_e32 v98, 0                                       // 0000000037CC: 7EC40280
	v_mov_b32_e32 v163, 0                                      // 0000000037D0: 7F460280
	v_mov_b32_e32 v99, 0                                       // 0000000037D4: 7EC60280
	v_mov_b32_e32 v164, 0                                      // 0000000037D8: 7F480280
	v_mov_b32_e32 v100, 0                                      // 0000000037DC: 7EC80280
	v_mov_b32_e32 v165, 0                                      // 0000000037E0: 7F4A0280
	v_mov_b32_e32 v101, 0                                      // 0000000037E4: 7ECA0280
	v_mov_b32_e32 v166, 0                                      // 0000000037E8: 7F4C0280
	v_mov_b32_e32 v102, 0                                      // 0000000037EC: 7ECC0280
	v_mov_b32_e32 v167, 0                                      // 0000000037F0: 7F4E0280
	v_mov_b32_e32 v103, 0                                      // 0000000037F4: 7ECE0280
	v_mov_b32_e32 v168, 0                                      // 0000000037F8: 7F500280
	v_mov_b32_e32 v104, 0                                      // 0000000037FC: 7ED00280
	v_mov_b32_e32 v169, 0                                      // 000000003800: 7F520280
	v_mov_b32_e32 v105, 0                                      // 000000003804: 7ED20280
	v_mov_b32_e32 v170, 0                                      // 000000003808: 7F540280
	v_mov_b32_e32 v106, 0                                      // 00000000380C: 7ED40280
	v_mov_b32_e32 v171, 0                                      // 000000003810: 7F560280
	v_mov_b32_e32 v107, 0                                      // 000000003814: 7ED60280
	v_mov_b32_e32 v172, 0                                      // 000000003818: 7F580280
	v_mov_b32_e32 v108, 0                                      // 00000000381C: 7ED80280
	v_mov_b32_e32 v173, 0                                      // 000000003820: 7F5A0280
	v_mov_b32_e32 v109, 0                                      // 000000003824: 7EDA0280
	v_mov_b32_e32 v174, 0                                      // 000000003828: 7F5C0280
	v_mov_b32_e32 v110, 0                                      // 00000000382C: 7EDC0280
	v_mov_b32_e32 v175, 0                                      // 000000003830: 7F5E0280
	v_mov_b32_e32 v111, 0                                      // 000000003834: 7EDE0280
	v_mov_b32_e32 v176, 0                                      // 000000003838: 7F600280
	v_mov_b32_e32 v112, 0                                      // 00000000383C: 7EE00280
	v_mov_b32_e32 v177, 0                                      // 000000003840: 7F620280
	v_mov_b32_e32 v113, 0                                      // 000000003844: 7EE20280
	v_mov_b32_e32 v178, 0                                      // 000000003848: 7F640280
	v_mov_b32_e32 v114, 0                                      // 00000000384C: 7EE40280
	v_mov_b32_e32 v179, 0                                      // 000000003850: 7F660280
	v_mov_b32_e32 v115, 0                                      // 000000003854: 7EE60280
	v_mov_b32_e32 v180, 0                                      // 000000003858: 7F680280
	v_mov_b32_e32 v116, 0                                      // 00000000385C: 7EE80280
	v_mov_b32_e32 v181, 0                                      // 000000003860: 7F6A0280
	v_mov_b32_e32 v117, 0                                      // 000000003864: 7EEA0280
	v_mov_b32_e32 v182, 0                                      // 000000003868: 7F6C0280
	v_mov_b32_e32 v118, 0                                      // 00000000386C: 7EEC0280
	v_mov_b32_e32 v183, 0                                      // 000000003870: 7F6E0280
	v_mov_b32_e32 v119, 0                                      // 000000003874: 7EEE0280
	v_mov_b32_e32 v184, 0                                      // 000000003878: 7F700280
	v_mov_b32_e32 v120, 0                                      // 00000000387C: 7EF00280
	v_mov_b32_e32 v185, 0                                      // 000000003880: 7F720280
	v_mov_b32_e32 v121, 0                                      // 000000003884: 7EF20280
	v_mov_b32_e32 v186, 0                                      // 000000003888: 7F740280
	v_mov_b32_e32 v122, 0                                      // 00000000388C: 7EF40280
	v_mov_b32_e32 v187, 0                                      // 000000003890: 7F760280
	v_mov_b32_e32 v123, 0                                      // 000000003894: 7EF60280
	v_mov_b32_e32 v188, 0                                      // 000000003898: 7F780280
	v_mov_b32_e32 v124, 0                                      // 00000000389C: 7EF80280
	v_mov_b32_e32 v189, 0                                      // 0000000038A0: 7F7A0280
	v_mov_b32_e32 v125, 0                                      // 0000000038A4: 7EFA0280
	v_mov_b32_e32 v190, 0                                      // 0000000038A8: 7F7C0280
	v_mov_b32_e32 v126, 0                                      // 0000000038AC: 7EFC0280
	v_mov_b32_e32 v191, 0                                      // 0000000038B0: 7F7E0280
	v_mov_b32_e32 v127, 0                                      // 0000000038B4: 7EFE0280
	v_lshrrev_b32_e32 v52, 4, v0                               // 0000000038B8: 20680084
	v_mul_i32_i24_e32 v3, 34, v52                              // 0000000038BC: 0C0668A2
	v_and_b32_e32 v52, 15, v0                                  // 0000000038C0: 2668008F
	v_mul_i32_i24_e32 v53, 2, v52                              // 0000000038C4: 0C6A6882
	v_add_u32_e32 v3, v53, v3                                  // 0000000038C8: 68060735
	s_mul_i32 s60, s7, 0x88                                    // 0000000038CC: 923CFF07 00000088
	v_add_u32_e32 v3, s60, v3                                  // 0000000038D4: 6806063C
	v_lshlrev_b32_e32 v3, 2, v3                                // 0000000038D8: 24060682
	v_lshrrev_b32_e32 v52, 1, v0                               // 0000000038DC: 20680081
	v_mul_i32_i24_e32 v4, 34, v52                              // 0000000038E0: 0C0868A2
	v_and_b32_e32 v53, 1, v0                                   // 0000000038E4: 266A0081
	v_add_u32_e32 v4, v53, v4                                  // 0000000038E8: 68080935
	s_mul_i32 s60, s7, 2                                       // 0000000038EC: 923C8207
	v_add_u32_e32 v4, s60, v4                                  // 0000000038F0: 6808083C
	v_lshlrev_b32_e32 v4, 2, v4                                // 0000000038F4: 24080882
	s_waitcnt vmcnt(32)                                        // 0000000038F8: BF8C8F70
	s_barrier                                                  // 0000000038FC: BF8A0000
	ds_read_b128 v[192:195], v2                                // 000000003900: D9FE0000 C0000002
	ds_read_b128 v[196:199], v2 offset:64                      // 000000003908: D9FE0040 C4000002
	ds_read_b128 v[200:203], v2 offset:128                     // 000000003910: D9FE0080 C8000002
	ds_read_b128 v[204:207], v2 offset:192                     // 000000003918: D9FE00C0 CC000002
	ds_read_b128 v[208:211], v2 offset:1024                    // 000000003920: D9FE0400 D0000002
	ds_read_b128 v[212:215], v2 offset:1088                    // 000000003928: D9FE0440 D4000002
	ds_read_b128 v[216:219], v2 offset:1152                    // 000000003930: D9FE0480 D8000002
	ds_read_b128 v[220:223], v2 offset:1216                    // 000000003938: D9FE04C0 DC000002
	s_cmp_lt_i32 s7, 2                                         // 000000003940: BF048207
	s_cbranch_scc0 label_160B                                  // 000000003944: BF841339

0000000000003948 <label_02D2>:
	s_waitcnt vmcnt(24) lgkmcnt(0)                             // 000000003948: BF8C4078
	s_barrier                                                  // 00000000394C: BF8A0000
	v_mfma_f32_16x16x32_fp8_fp8 v[128:131], a[0:1], v[192:193], v[128:131]// 000000003950: D3F30080 0E038100
	v_mfma_f32_16x16x32_fp8_fp8 v[128:131], a[2:3], v[194:195], v[128:131]// 000000003958: D3F30080 0E038502
	buffer_load_dwordx4 a[128:131], v34, s[92:95], 0 offen     // 000000003960: E05C1000 80978022
	v_mfma_f32_16x16x32_fp8_fp8 v[128:131], a[4:5], v[196:197], v[128:131]// 000000003968: D3F30080 0E038904
	v_mfma_f32_16x16x32_fp8_fp8 v[128:131], a[6:7], v[198:199], v[128:131]// 000000003970: D3F30080 0E038D06
	buffer_load_dword v26, s[20:23], 0 offen lds               // 000000003978: E0511000 8005001A
	s_add_u32 m0, 0x100, s51                                   // 000000003980: 807C33FF 00000100
	v_mfma_f32_16x16x32_fp8_fp8 v[128:131], a[8:9], v[200:201], v[128:131]// 000000003988: D3F30080 0E039108
	v_mfma_f32_16x16x32_fp8_fp8 v[128:131], a[10:11], v[202:203], v[128:131]// 000000003990: D3F30080 0E03950A
	buffer_load_dwordx4 a[132:135], v34, s[92:95], 0 offen offset:1024// 000000003998: E05C1400 80978422
	v_mfma_f32_16x16x32_fp8_fp8 v[128:131], a[12:13], v[204:205], v[128:131]// 0000000039A0: D3F30080 0E03990C
	v_mfma_f32_16x16x32_fp8_fp8 v[128:131], a[14:15], v[206:207], v[128:131]// 0000000039A8: D3F30080 0E039D0E
	buffer_load_dword v27, s[20:23], 0 offen lds               // 0000000039B0: E0511000 8005001B
	s_add_u32 m0, 0x200, s51                                   // 0000000039B8: 807C33FF 00000200
	v_mfma_f32_16x16x32_fp8_fp8 v[132:135], a[0:1], v[208:209], v[132:135]// 0000000039C0: D3F30084 0E13A100
	v_mfma_f32_16x16x32_fp8_fp8 v[132:135], a[2:3], v[210:211], v[132:135]// 0000000039C8: D3F30084 0E13A502
	buffer_load_dwordx4 a[136:139], v34, s[92:95], 0 offen offset:2048// 0000000039D0: E05C1800 80978822
	v_mfma_f32_16x16x32_fp8_fp8 v[132:135], a[4:5], v[212:213], v[132:135]// 0000000039D8: D3F30084 0E13A904
	v_mfma_f32_16x16x32_fp8_fp8 v[132:135], a[6:7], v[214:215], v[132:135]// 0000000039E0: D3F30084 0E13AD06
	buffer_load_dword v28, s[20:23], 0 offen lds               // 0000000039E8: E0511000 8005001C
	s_add_u32 m0, 0x300, s51                                   // 0000000039F0: 807C33FF 00000300
	v_mfma_f32_16x16x32_fp8_fp8 v[132:135], a[8:9], v[216:217], v[132:135]// 0000000039F8: D3F30084 0E13B108
	v_mfma_f32_16x16x32_fp8_fp8 v[132:135], a[10:11], v[218:219], v[132:135]// 000000003A00: D3F30084 0E13B50A
	buffer_load_dwordx4 a[140:143], v34, s[92:95], 0 offen offset:3072// 000000003A08: E05C1C00 80978C22
	v_mfma_f32_16x16x32_fp8_fp8 v[132:135], a[12:13], v[220:221], v[132:135]// 000000003A10: D3F30084 0E13B90C
	v_mfma_f32_16x16x32_fp8_fp8 v[132:135], a[14:15], v[222:223], v[132:135]// 000000003A18: D3F30084 0E13BD0E
	buffer_load_dword v29, s[20:23], 0 offen lds               // 000000003A20: E0511000 8005001D
	s_add_u32 m0, 0x400, s51                                   // 000000003A28: 807C33FF 00000400
	v_mfma_f32_16x16x32_fp8_fp8 v[136:139], a[16:17], v[192:193], v[136:139]// 000000003A30: D3F30088 0E238110
	v_mfma_f32_16x16x32_fp8_fp8 v[136:139], a[18:19], v[194:195], v[136:139]// 000000003A38: D3F30088 0E238512
	buffer_load_dwordx4 a[144:147], v35, s[92:95], 0 offen     // 000000003A40: E05C1000 80979023
	v_mfma_f32_16x16x32_fp8_fp8 v[136:139], a[20:21], v[196:197], v[136:139]// 000000003A48: D3F30088 0E238914
	v_mfma_f32_16x16x32_fp8_fp8 v[136:139], a[22:23], v[198:199], v[136:139]// 000000003A50: D3F30088 0E238D16
	buffer_load_dword v30, s[20:23], 0 offen lds               // 000000003A58: E0511000 8005001E
	s_add_u32 m0, 0x500, s51                                   // 000000003A60: 807C33FF 00000500
	v_mfma_f32_16x16x32_fp8_fp8 v[136:139], a[24:25], v[200:201], v[136:139]// 000000003A68: D3F30088 0E239118
	v_mfma_f32_16x16x32_fp8_fp8 v[136:139], a[26:27], v[202:203], v[136:139]// 000000003A70: D3F30088 0E23951A
	buffer_load_dwordx4 a[148:151], v35, s[92:95], 0 offen offset:1024// 000000003A78: E05C1400 80979423
	v_mfma_f32_16x16x32_fp8_fp8 v[136:139], a[28:29], v[204:205], v[136:139]// 000000003A80: D3F30088 0E23991C
	v_mfma_f32_16x16x32_fp8_fp8 v[136:139], a[30:31], v[206:207], v[136:139]// 000000003A88: D3F30088 0E239D1E
	buffer_load_dword v31, s[20:23], 0 offen lds               // 000000003A90: E0511000 8005001F
	s_add_u32 m0, 0x600, s51                                   // 000000003A98: 807C33FF 00000600
	v_mfma_f32_16x16x32_fp8_fp8 v[140:143], a[16:17], v[208:209], v[140:143]// 000000003AA0: D3F3008C 0E33A110
	v_mfma_f32_16x16x32_fp8_fp8 v[140:143], a[18:19], v[210:211], v[140:143]// 000000003AA8: D3F3008C 0E33A512
	buffer_load_dwordx4 a[152:155], v35, s[92:95], 0 offen offset:2048// 000000003AB0: E05C1800 80979823
	v_mfma_f32_16x16x32_fp8_fp8 v[140:143], a[20:21], v[212:213], v[140:143]// 000000003AB8: D3F3008C 0E33A914
	v_mfma_f32_16x16x32_fp8_fp8 v[140:143], a[22:23], v[214:215], v[140:143]// 000000003AC0: D3F3008C 0E33AD16
	buffer_load_dword v32, s[20:23], 0 offen lds               // 000000003AC8: E0511000 80050020
	s_add_u32 m0, 0x700, s51                                   // 000000003AD0: 807C33FF 00000700
	v_mfma_f32_16x16x32_fp8_fp8 v[140:143], a[24:25], v[216:217], v[140:143]// 000000003AD8: D3F3008C 0E33B118
	v_mfma_f32_16x16x32_fp8_fp8 v[140:143], a[26:27], v[218:219], v[140:143]// 000000003AE0: D3F3008C 0E33B51A
	buffer_load_dwordx4 a[156:159], v35, s[92:95], 0 offen offset:3072// 000000003AE8: E05C1C00 80979C23
	v_mfma_f32_16x16x32_fp8_fp8 v[140:143], a[28:29], v[220:221], v[140:143]// 000000003AF0: D3F3008C 0E33B91C
	v_mfma_f32_16x16x32_fp8_fp8 v[140:143], a[30:31], v[222:223], v[140:143]// 000000003AF8: D3F3008C 0E33BD1E
	buffer_load_dword v33, s[20:23], 0 offen lds               // 000000003B00: E0511000 80050021
	s_add_u32 m0, 0, s50                                       // 000000003B08: 807C3280
	s_waitcnt vmcnt(36)                                        // 000000003B0C: BF8C8F74
	v_mfma_f32_16x16x32_fp8_fp8 v[144:147], a[32:33], v[192:193], v[144:147]// 000000003B10: D3F30090 0E438120
	v_mfma_f32_16x16x32_fp8_fp8 v[144:147], a[34:35], v[194:195], v[144:147]// 000000003B18: D3F30090 0E438522
	buffer_load_dwordx4 a[160:163], v36, s[92:95], 0 offen     // 000000003B20: E05C1000 8097A024
	v_mfma_f32_16x16x32_fp8_fp8 v[144:147], a[36:37], v[196:197], v[144:147]// 000000003B28: D3F30090 0E438924
	v_mfma_f32_16x16x32_fp8_fp8 v[144:147], a[38:39], v[198:199], v[144:147]// 000000003B30: D3F30090 0E438D26
	v_mfma_f32_16x16x32_fp8_fp8 v[144:147], a[40:41], v[200:201], v[144:147]// 000000003B38: D3F30090 0E439128
	v_mfma_f32_16x16x32_fp8_fp8 v[144:147], a[42:43], v[202:203], v[144:147]// 000000003B40: D3F30090 0E43952A
	buffer_load_dwordx4 a[164:167], v36, s[92:95], 0 offen offset:1024// 000000003B48: E05C1400 8097A424
	v_mfma_f32_16x16x32_fp8_fp8 v[144:147], a[44:45], v[204:205], v[144:147]// 000000003B50: D3F30090 0E43992C
	v_mfma_f32_16x16x32_fp8_fp8 v[144:147], a[46:47], v[206:207], v[144:147]// 000000003B58: D3F30090 0E439D2E
	v_mfma_f32_16x16x32_fp8_fp8 v[148:151], a[32:33], v[208:209], v[148:151]// 000000003B60: D3F30094 0E53A120
	v_mfma_f32_16x16x32_fp8_fp8 v[148:151], a[34:35], v[210:211], v[148:151]// 000000003B68: D3F30094 0E53A522
	buffer_load_dwordx4 a[168:171], v36, s[92:95], 0 offen offset:2048// 000000003B70: E05C1800 8097A824
	v_mfma_f32_16x16x32_fp8_fp8 v[148:151], a[36:37], v[212:213], v[148:151]// 000000003B78: D3F30094 0E53A924
	v_mfma_f32_16x16x32_fp8_fp8 v[148:151], a[38:39], v[214:215], v[148:151]// 000000003B80: D3F30094 0E53AD26
	v_mfma_f32_16x16x32_fp8_fp8 v[148:151], a[40:41], v[216:217], v[148:151]// 000000003B88: D3F30094 0E53B128
	v_mfma_f32_16x16x32_fp8_fp8 v[148:151], a[42:43], v[218:219], v[148:151]// 000000003B90: D3F30094 0E53B52A
	buffer_load_dwordx4 a[172:175], v36, s[92:95], 0 offen offset:3072// 000000003B98: E05C1C00 8097AC24
	v_mfma_f32_16x16x32_fp8_fp8 v[148:151], a[44:45], v[220:221], v[148:151]// 000000003BA0: D3F30094 0E53B92C
	v_mfma_f32_16x16x32_fp8_fp8 v[148:151], a[46:47], v[222:223], v[148:151]// 000000003BA8: D3F30094 0E53BD2E
	s_waitcnt vmcnt(36)                                        // 000000003BB0: BF8C8F74
	v_mfma_f32_16x16x32_fp8_fp8 v[152:155], a[48:49], v[192:193], v[152:155]// 000000003BB4: D3F30098 0E638130
	v_mfma_f32_16x16x32_fp8_fp8 v[152:155], a[50:51], v[194:195], v[152:155]// 000000003BBC: D3F30098 0E638532
	buffer_load_dwordx4 a[176:179], v37, s[92:95], 0 offen     // 000000003BC4: E05C1000 8097B025
	v_mfma_f32_16x16x32_fp8_fp8 v[152:155], a[52:53], v[196:197], v[152:155]// 000000003BCC: D3F30098 0E638934
	v_mfma_f32_16x16x32_fp8_fp8 v[152:155], a[54:55], v[198:199], v[152:155]// 000000003BD4: D3F30098 0E638D36
	v_mfma_f32_16x16x32_fp8_fp8 v[152:155], a[56:57], v[200:201], v[152:155]// 000000003BDC: D3F30098 0E639138
	v_mfma_f32_16x16x32_fp8_fp8 v[152:155], a[58:59], v[202:203], v[152:155]// 000000003BE4: D3F30098 0E63953A
	buffer_load_dwordx4 a[180:183], v37, s[92:95], 0 offen offset:1024// 000000003BEC: E05C1400 8097B425
	v_mfma_f32_16x16x32_fp8_fp8 v[152:155], a[60:61], v[204:205], v[152:155]// 000000003BF4: D3F30098 0E63993C
	v_mfma_f32_16x16x32_fp8_fp8 v[152:155], a[62:63], v[206:207], v[152:155]// 000000003BFC: D3F30098 0E639D3E
	v_mfma_f32_16x16x32_fp8_fp8 v[156:159], a[48:49], v[208:209], v[156:159]// 000000003C04: D3F3009C 0E73A130
	v_mfma_f32_16x16x32_fp8_fp8 v[156:159], a[50:51], v[210:211], v[156:159]// 000000003C0C: D3F3009C 0E73A532
	buffer_load_dwordx4 a[184:187], v37, s[92:95], 0 offen offset:2048// 000000003C14: E05C1800 8097B825
	v_mfma_f32_16x16x32_fp8_fp8 v[156:159], a[52:53], v[212:213], v[156:159]// 000000003C1C: D3F3009C 0E73A934
	v_mfma_f32_16x16x32_fp8_fp8 v[156:159], a[54:55], v[214:215], v[156:159]// 000000003C24: D3F3009C 0E73AD36
	v_mfma_f32_16x16x32_fp8_fp8 v[156:159], a[56:57], v[216:217], v[156:159]// 000000003C2C: D3F3009C 0E73B138
	v_mfma_f32_16x16x32_fp8_fp8 v[156:159], a[58:59], v[218:219], v[156:159]// 000000003C34: D3F3009C 0E73B53A
	buffer_load_dwordx4 a[188:191], v37, s[92:95], 0 offen offset:3072// 000000003C3C: E05C1C00 8097BC25
	v_mfma_f32_16x16x32_fp8_fp8 v[156:159], a[60:61], v[220:221], v[156:159]// 000000003C44: D3F3009C 0E73B93C
	v_mfma_f32_16x16x32_fp8_fp8 v[156:159], a[62:63], v[222:223], v[156:159]// 000000003C4C: D3F3009C 0E73BD3E
	s_waitcnt vmcnt(36)                                        // 000000003C54: BF8C8F74
	v_mfma_f32_16x16x32_fp8_fp8 v[160:163], a[64:65], v[192:193], v[160:163]// 000000003C58: D3F300A0 0E838140
	v_mfma_f32_16x16x32_fp8_fp8 v[160:163], a[66:67], v[194:195], v[160:163]// 000000003C60: D3F300A0 0E838542
	buffer_load_dwordx4 a[192:195], v38, s[92:95], 0 offen     // 000000003C68: E05C1000 8097C026
	v_mfma_f32_16x16x32_fp8_fp8 v[160:163], a[68:69], v[196:197], v[160:163]// 000000003C70: D3F300A0 0E838944
	v_mfma_f32_16x16x32_fp8_fp8 v[160:163], a[70:71], v[198:199], v[160:163]// 000000003C78: D3F300A0 0E838D46
	v_mfma_f32_16x16x32_fp8_fp8 v[160:163], a[72:73], v[200:201], v[160:163]// 000000003C80: D3F300A0 0E839148
	v_mfma_f32_16x16x32_fp8_fp8 v[160:163], a[74:75], v[202:203], v[160:163]// 000000003C88: D3F300A0 0E83954A
	buffer_load_dwordx4 a[196:199], v38, s[92:95], 0 offen offset:1024// 000000003C90: E05C1400 8097C426
	v_mfma_f32_16x16x32_fp8_fp8 v[160:163], a[76:77], v[204:205], v[160:163]// 000000003C98: D3F300A0 0E83994C
	v_mfma_f32_16x16x32_fp8_fp8 v[160:163], a[78:79], v[206:207], v[160:163]// 000000003CA0: D3F300A0 0E839D4E
	v_mfma_f32_16x16x32_fp8_fp8 v[164:167], a[64:65], v[208:209], v[164:167]// 000000003CA8: D3F300A4 0E93A140
	v_mfma_f32_16x16x32_fp8_fp8 v[164:167], a[66:67], v[210:211], v[164:167]// 000000003CB0: D3F300A4 0E93A542
	buffer_load_dwordx4 a[200:203], v38, s[92:95], 0 offen offset:2048// 000000003CB8: E05C1800 8097C826
	v_mfma_f32_16x16x32_fp8_fp8 v[164:167], a[68:69], v[212:213], v[164:167]// 000000003CC0: D3F300A4 0E93A944
	v_mfma_f32_16x16x32_fp8_fp8 v[164:167], a[70:71], v[214:215], v[164:167]// 000000003CC8: D3F300A4 0E93AD46
	v_mfma_f32_16x16x32_fp8_fp8 v[164:167], a[72:73], v[216:217], v[164:167]// 000000003CD0: D3F300A4 0E93B148
	v_mfma_f32_16x16x32_fp8_fp8 v[164:167], a[74:75], v[218:219], v[164:167]// 000000003CD8: D3F300A4 0E93B54A
	buffer_load_dwordx4 a[204:207], v38, s[92:95], 0 offen offset:3072// 000000003CE0: E05C1C00 8097CC26
	v_mfma_f32_16x16x32_fp8_fp8 v[164:167], a[76:77], v[220:221], v[164:167]// 000000003CE8: D3F300A4 0E93B94C
	v_mfma_f32_16x16x32_fp8_fp8 v[164:167], a[78:79], v[222:223], v[164:167]// 000000003CF0: D3F300A4 0E93BD4E
	s_waitcnt vmcnt(36)                                        // 000000003CF8: BF8C8F74
	v_mfma_f32_16x16x32_fp8_fp8 v[168:171], a[80:81], v[192:193], v[168:171]// 000000003CFC: D3F300A8 0EA38150
	v_mfma_f32_16x16x32_fp8_fp8 v[168:171], a[82:83], v[194:195], v[168:171]// 000000003D04: D3F300A8 0EA38552
	buffer_load_dwordx4 a[208:211], v39, s[92:95], 0 offen     // 000000003D0C: E05C1000 8097D027
	v_mfma_f32_16x16x32_fp8_fp8 v[168:171], a[84:85], v[196:197], v[168:171]// 000000003D14: D3F300A8 0EA38954
	v_mfma_f32_16x16x32_fp8_fp8 v[168:171], a[86:87], v[198:199], v[168:171]// 000000003D1C: D3F300A8 0EA38D56
	v_mfma_f32_16x16x32_fp8_fp8 v[168:171], a[88:89], v[200:201], v[168:171]// 000000003D24: D3F300A8 0EA39158
	v_mfma_f32_16x16x32_fp8_fp8 v[168:171], a[90:91], v[202:203], v[168:171]// 000000003D2C: D3F300A8 0EA3955A
	buffer_load_dwordx4 a[212:215], v39, s[92:95], 0 offen offset:1024// 000000003D34: E05C1400 8097D427
	v_mfma_f32_16x16x32_fp8_fp8 v[168:171], a[92:93], v[204:205], v[168:171]// 000000003D3C: D3F300A8 0EA3995C
	v_mfma_f32_16x16x32_fp8_fp8 v[168:171], a[94:95], v[206:207], v[168:171]// 000000003D44: D3F300A8 0EA39D5E
	v_mfma_f32_16x16x32_fp8_fp8 v[172:175], a[80:81], v[208:209], v[172:175]// 000000003D4C: D3F300AC 0EB3A150
	v_mfma_f32_16x16x32_fp8_fp8 v[172:175], a[82:83], v[210:211], v[172:175]// 000000003D54: D3F300AC 0EB3A552
	buffer_load_dwordx4 a[216:219], v39, s[92:95], 0 offen offset:2048// 000000003D5C: E05C1800 8097D827
	v_mfma_f32_16x16x32_fp8_fp8 v[172:175], a[84:85], v[212:213], v[172:175]// 000000003D64: D3F300AC 0EB3A954
	v_mfma_f32_16x16x32_fp8_fp8 v[172:175], a[86:87], v[214:215], v[172:175]// 000000003D6C: D3F300AC 0EB3AD56
	v_mfma_f32_16x16x32_fp8_fp8 v[172:175], a[88:89], v[216:217], v[172:175]// 000000003D74: D3F300AC 0EB3B158
	v_mfma_f32_16x16x32_fp8_fp8 v[172:175], a[90:91], v[218:219], v[172:175]// 000000003D7C: D3F300AC 0EB3B55A
	buffer_load_dwordx4 a[220:223], v39, s[92:95], 0 offen offset:3072// 000000003D84: E05C1C00 8097DC27
	v_mfma_f32_16x16x32_fp8_fp8 v[172:175], a[92:93], v[220:221], v[172:175]// 000000003D8C: D3F300AC 0EB3B95C
	v_mfma_f32_16x16x32_fp8_fp8 v[172:175], a[94:95], v[222:223], v[172:175]// 000000003D94: D3F300AC 0EB3BD5E
	s_waitcnt vmcnt(36)                                        // 000000003D9C: BF8C8F74
	v_mfma_f32_16x16x32_fp8_fp8 v[176:179], a[96:97], v[192:193], v[176:179]// 000000003DA0: D3F300B0 0EC38160
	v_mfma_f32_16x16x32_fp8_fp8 v[176:179], a[98:99], v[194:195], v[176:179]// 000000003DA8: D3F300B0 0EC38562
	buffer_load_dwordx4 a[224:227], v40, s[92:95], 0 offen     // 000000003DB0: E05C1000 8097E028
	v_mfma_f32_16x16x32_fp8_fp8 v[176:179], a[100:101], v[196:197], v[176:179]// 000000003DB8: D3F300B0 0EC38964
	v_mfma_f32_16x16x32_fp8_fp8 v[176:179], a[102:103], v[198:199], v[176:179]// 000000003DC0: D3F300B0 0EC38D66
	v_mfma_f32_16x16x32_fp8_fp8 v[176:179], a[104:105], v[200:201], v[176:179]// 000000003DC8: D3F300B0 0EC39168
	v_mfma_f32_16x16x32_fp8_fp8 v[176:179], a[106:107], v[202:203], v[176:179]// 000000003DD0: D3F300B0 0EC3956A
	buffer_load_dwordx4 a[228:231], v40, s[92:95], 0 offen offset:1024// 000000003DD8: E05C1400 8097E428
	v_mfma_f32_16x16x32_fp8_fp8 v[176:179], a[108:109], v[204:205], v[176:179]// 000000003DE0: D3F300B0 0EC3996C
	v_mfma_f32_16x16x32_fp8_fp8 v[176:179], a[110:111], v[206:207], v[176:179]// 000000003DE8: D3F300B0 0EC39D6E
	v_mfma_f32_16x16x32_fp8_fp8 v[180:183], a[96:97], v[208:209], v[180:183]// 000000003DF0: D3F300B4 0ED3A160
	v_mfma_f32_16x16x32_fp8_fp8 v[180:183], a[98:99], v[210:211], v[180:183]// 000000003DF8: D3F300B4 0ED3A562
	buffer_load_dwordx4 a[232:235], v40, s[92:95], 0 offen offset:2048// 000000003E00: E05C1800 8097E828
	v_mfma_f32_16x16x32_fp8_fp8 v[180:183], a[100:101], v[212:213], v[180:183]// 000000003E08: D3F300B4 0ED3A964
	v_mfma_f32_16x16x32_fp8_fp8 v[180:183], a[102:103], v[214:215], v[180:183]// 000000003E10: D3F300B4 0ED3AD66
	v_mfma_f32_16x16x32_fp8_fp8 v[180:183], a[104:105], v[216:217], v[180:183]// 000000003E18: D3F300B4 0ED3B168
	v_mfma_f32_16x16x32_fp8_fp8 v[180:183], a[106:107], v[218:219], v[180:183]// 000000003E20: D3F300B4 0ED3B56A
	buffer_load_dwordx4 a[236:239], v40, s[92:95], 0 offen offset:3072// 000000003E28: E05C1C00 8097EC28
	v_mfma_f32_16x16x32_fp8_fp8 v[180:183], a[108:109], v[220:221], v[180:183]// 000000003E30: D3F300B4 0ED3B96C
	v_mfma_f32_16x16x32_fp8_fp8 v[180:183], a[110:111], v[222:223], v[180:183]// 000000003E38: D3F300B4 0ED3BD6E
	s_waitcnt vmcnt(36)                                        // 000000003E40: BF8C8F74
	v_mfma_f32_16x16x32_fp8_fp8 v[184:187], a[112:113], v[192:193], v[184:187]// 000000003E44: D3F300B8 0EE38170
	v_mfma_f32_16x16x32_fp8_fp8 v[184:187], a[114:115], v[194:195], v[184:187]// 000000003E4C: D3F300B8 0EE38572
	buffer_load_dwordx4 a[240:243], v41, s[92:95], 0 offen     // 000000003E54: E05C1000 8097F029
	v_mfma_f32_16x16x32_fp8_fp8 v[184:187], a[116:117], v[196:197], v[184:187]// 000000003E5C: D3F300B8 0EE38974
	v_mfma_f32_16x16x32_fp8_fp8 v[184:187], a[118:119], v[198:199], v[184:187]// 000000003E64: D3F300B8 0EE38D76
	v_mfma_f32_16x16x32_fp8_fp8 v[184:187], a[120:121], v[200:201], v[184:187]// 000000003E6C: D3F300B8 0EE39178
	v_mfma_f32_16x16x32_fp8_fp8 v[184:187], a[122:123], v[202:203], v[184:187]// 000000003E74: D3F300B8 0EE3957A
	buffer_load_dwordx4 a[244:247], v41, s[92:95], 0 offen offset:1024// 000000003E7C: E05C1400 8097F429
	v_mfma_f32_16x16x32_fp8_fp8 v[184:187], a[124:125], v[204:205], v[184:187]// 000000003E84: D3F300B8 0EE3997C
	v_mfma_f32_16x16x32_fp8_fp8 v[184:187], a[126:127], v[206:207], v[184:187]// 000000003E8C: D3F300B8 0EE39D7E
	v_mfma_f32_16x16x32_fp8_fp8 v[188:191], a[112:113], v[208:209], v[188:191]// 000000003E94: D3F300BC 0EF3A170
	v_mfma_f32_16x16x32_fp8_fp8 v[188:191], a[114:115], v[210:211], v[188:191]// 000000003E9C: D3F300BC 0EF3A572
	buffer_load_dwordx4 a[248:251], v41, s[92:95], 0 offen offset:2048// 000000003EA4: E05C1800 8097F829
	v_mfma_f32_16x16x32_fp8_fp8 v[188:191], a[116:117], v[212:213], v[188:191]// 000000003EAC: D3F300BC 0EF3A974
	v_mfma_f32_16x16x32_fp8_fp8 v[188:191], a[118:119], v[214:215], v[188:191]// 000000003EB4: D3F300BC 0EF3AD76
	v_mfma_f32_16x16x32_fp8_fp8 v[188:191], a[120:121], v[216:217], v[188:191]// 000000003EBC: D3F300BC 0EF3B178
	v_mfma_f32_16x16x32_fp8_fp8 v[188:191], a[122:123], v[218:219], v[188:191]// 000000003EC4: D3F300BC 0EF3B57A
	buffer_load_dwordx4 a[252:255], v41, s[92:95], 0 offen offset:3072// 000000003ECC: E05C1C00 8097FC29
	v_mfma_f32_16x16x32_fp8_fp8 v[188:191], a[124:125], v[220:221], v[188:191]// 000000003ED4: D3F300BC 0EF3B97C
	v_mfma_f32_16x16x32_fp8_fp8 v[188:191], a[126:127], v[222:223], v[188:191]// 000000003EDC: D3F300BC 0EF3BD7E
	s_waitcnt vmcnt(24)                                        // 000000003EE4: BF8C4F78
	s_barrier                                                  // 000000003EE8: BF8A0000
	v_mfma_f32_16x16x32_fp8_fp8 v[64:67], a[128:129], v[192:193], v[64:67]// 000000003EEC: D3F30040 0D038180
	v_mfma_f32_16x16x32_fp8_fp8 v[64:67], a[130:131], v[194:195], v[64:67]// 000000003EF4: D3F30040 0D038582
	buffer_load_dwordx4 a[0:3], v34, s[24:27], 0 offen         // 000000003EFC: E05C1000 80860022
	v_mfma_f32_16x16x32_fp8_fp8 v[64:67], a[132:133], v[196:197], v[64:67]// 000000003F04: D3F30040 0D038984
	v_mfma_f32_16x16x32_fp8_fp8 v[64:67], a[134:135], v[198:199], v[64:67]// 000000003F0C: D3F30040 0D038D86
	v_mfma_f32_16x16x32_fp8_fp8 v[64:67], a[136:137], v[200:201], v[64:67]// 000000003F14: D3F30040 0D039188
	v_mfma_f32_16x16x32_fp8_fp8 v[64:67], a[138:139], v[202:203], v[64:67]// 000000003F1C: D3F30040 0D03958A
	buffer_load_dwordx4 a[4:7], v34, s[24:27], 0 offen offset:1024// 000000003F24: E05C1400 80860422
	v_mfma_f32_16x16x32_fp8_fp8 v[64:67], a[140:141], v[204:205], v[64:67]// 000000003F2C: D3F30040 0D03998C
	v_mfma_f32_16x16x32_fp8_fp8 v[64:67], a[142:143], v[206:207], v[64:67]// 000000003F34: D3F30040 0D039D8E
	v_mfma_f32_16x16x32_fp8_fp8 v[68:71], a[128:129], v[208:209], v[68:71]// 000000003F3C: D3F30044 0D13A180
	v_mfma_f32_16x16x32_fp8_fp8 v[68:71], a[130:131], v[210:211], v[68:71]// 000000003F44: D3F30044 0D13A582
	buffer_load_dwordx4 a[8:11], v34, s[24:27], 0 offen offset:2048// 000000003F4C: E05C1800 80860822
	v_mfma_f32_16x16x32_fp8_fp8 v[68:71], a[132:133], v[212:213], v[68:71]// 000000003F54: D3F30044 0D13A984
	v_mfma_f32_16x16x32_fp8_fp8 v[68:71], a[134:135], v[214:215], v[68:71]// 000000003F5C: D3F30044 0D13AD86
	v_mfma_f32_16x16x32_fp8_fp8 v[68:71], a[136:137], v[216:217], v[68:71]// 000000003F64: D3F30044 0D13B188
	v_mfma_f32_16x16x32_fp8_fp8 v[68:71], a[138:139], v[218:219], v[68:71]// 000000003F6C: D3F30044 0D13B58A
	buffer_load_dwordx4 a[12:15], v34, s[24:27], 0 offen offset:3072// 000000003F74: E05C1C00 80860C22
	v_mfma_f32_16x16x32_fp8_fp8 v[68:71], a[140:141], v[220:221], v[68:71]// 000000003F7C: D3F30044 0D13B98C
	v_mfma_f32_16x16x32_fp8_fp8 v[68:71], a[142:143], v[222:223], v[68:71]// 000000003F84: D3F30044 0D13BD8E
	v_mfma_f32_16x16x32_fp8_fp8 v[72:75], a[144:145], v[192:193], v[72:75]// 000000003F8C: D3F30048 0D238190
	v_mfma_f32_16x16x32_fp8_fp8 v[72:75], a[146:147], v[194:195], v[72:75]// 000000003F94: D3F30048 0D238592
	buffer_load_dwordx4 a[16:19], v35, s[24:27], 0 offen       // 000000003F9C: E05C1000 80861023
	v_mfma_f32_16x16x32_fp8_fp8 v[72:75], a[148:149], v[196:197], v[72:75]// 000000003FA4: D3F30048 0D238994
	v_mfma_f32_16x16x32_fp8_fp8 v[72:75], a[150:151], v[198:199], v[72:75]// 000000003FAC: D3F30048 0D238D96
	v_mfma_f32_16x16x32_fp8_fp8 v[72:75], a[152:153], v[200:201], v[72:75]// 000000003FB4: D3F30048 0D239198
	v_mfma_f32_16x16x32_fp8_fp8 v[72:75], a[154:155], v[202:203], v[72:75]// 000000003FBC: D3F30048 0D23959A
	buffer_load_dwordx4 a[20:23], v35, s[24:27], 0 offen offset:1024// 000000003FC4: E05C1400 80861423
	v_mfma_f32_16x16x32_fp8_fp8 v[72:75], a[156:157], v[204:205], v[72:75]// 000000003FCC: D3F30048 0D23999C
	v_mfma_f32_16x16x32_fp8_fp8 v[72:75], a[158:159], v[206:207], v[72:75]// 000000003FD4: D3F30048 0D239D9E
	v_mfma_f32_16x16x32_fp8_fp8 v[76:79], a[144:145], v[208:209], v[76:79]// 000000003FDC: D3F3004C 0D33A190
	v_mfma_f32_16x16x32_fp8_fp8 v[76:79], a[146:147], v[210:211], v[76:79]// 000000003FE4: D3F3004C 0D33A592
	buffer_load_dwordx4 a[24:27], v35, s[24:27], 0 offen offset:2048// 000000003FEC: E05C1800 80861823
	v_mfma_f32_16x16x32_fp8_fp8 v[76:79], a[148:149], v[212:213], v[76:79]// 000000003FF4: D3F3004C 0D33A994
	v_mfma_f32_16x16x32_fp8_fp8 v[76:79], a[150:151], v[214:215], v[76:79]// 000000003FFC: D3F3004C 0D33AD96
	v_mfma_f32_16x16x32_fp8_fp8 v[76:79], a[152:153], v[216:217], v[76:79]// 000000004004: D3F3004C 0D33B198
	v_mfma_f32_16x16x32_fp8_fp8 v[76:79], a[154:155], v[218:219], v[76:79]// 00000000400C: D3F3004C 0D33B59A
	buffer_load_dwordx4 a[28:31], v35, s[24:27], 0 offen offset:3072// 000000004014: E05C1C00 80861C23
	v_mfma_f32_16x16x32_fp8_fp8 v[76:79], a[156:157], v[220:221], v[76:79]// 00000000401C: D3F3004C 0D33B99C
	v_mfma_f32_16x16x32_fp8_fp8 v[76:79], a[158:159], v[222:223], v[76:79]// 000000004024: D3F3004C 0D33BD9E
	s_waitcnt vmcnt(28)                                        // 00000000402C: BF8C4F7C
	v_mfma_f32_16x16x32_fp8_fp8 v[80:83], a[160:161], v[192:193], v[80:83]// 000000004030: D3F30050 0D4381A0
	v_mfma_f32_16x16x32_fp8_fp8 v[80:83], a[162:163], v[194:195], v[80:83]// 000000004038: D3F30050 0D4385A2
	buffer_load_dwordx4 a[32:35], v36, s[24:27], 0 offen       // 000000004040: E05C1000 80862024
	v_mfma_f32_16x16x32_fp8_fp8 v[80:83], a[164:165], v[196:197], v[80:83]// 000000004048: D3F30050 0D4389A4
	v_mfma_f32_16x16x32_fp8_fp8 v[80:83], a[166:167], v[198:199], v[80:83]// 000000004050: D3F30050 0D438DA6
	ds_read_b128 v[224:227], v2 offset:8320                    // 000000004058: D9FE2080 E0000002
	v_mfma_f32_16x16x32_fp8_fp8 v[80:83], a[168:169], v[200:201], v[80:83]// 000000004060: D3F30050 0D4391A8
	v_mfma_f32_16x16x32_fp8_fp8 v[80:83], a[170:171], v[202:203], v[80:83]// 000000004068: D3F30050 0D4395AA
	buffer_load_dwordx4 a[36:39], v36, s[24:27], 0 offen offset:1024// 000000004070: E05C1400 80862424
	v_mfma_f32_16x16x32_fp8_fp8 v[80:83], a[172:173], v[204:205], v[80:83]// 000000004078: D3F30050 0D4399AC
	v_mfma_f32_16x16x32_fp8_fp8 v[80:83], a[174:175], v[206:207], v[80:83]// 000000004080: D3F30050 0D439DAE
	ds_read_b128 v[228:231], v2 offset:8384                    // 000000004088: D9FE20C0 E4000002
	v_mfma_f32_16x16x32_fp8_fp8 v[84:87], a[160:161], v[208:209], v[84:87]// 000000004090: D3F30054 0D53A1A0
	v_mfma_f32_16x16x32_fp8_fp8 v[84:87], a[162:163], v[210:211], v[84:87]// 000000004098: D3F30054 0D53A5A2
	buffer_load_dwordx4 a[40:43], v36, s[24:27], 0 offen offset:2048// 0000000040A0: E05C1800 80862824
	v_mfma_f32_16x16x32_fp8_fp8 v[84:87], a[164:165], v[212:213], v[84:87]// 0000000040A8: D3F30054 0D53A9A4
	v_mfma_f32_16x16x32_fp8_fp8 v[84:87], a[166:167], v[214:215], v[84:87]// 0000000040B0: D3F30054 0D53ADA6
	ds_read_b128 v[232:235], v2 offset:8448                    // 0000000040B8: D9FE2100 E8000002
	v_mfma_f32_16x16x32_fp8_fp8 v[84:87], a[168:169], v[216:217], v[84:87]// 0000000040C0: D3F30054 0D53B1A8
	v_mfma_f32_16x16x32_fp8_fp8 v[84:87], a[170:171], v[218:219], v[84:87]// 0000000040C8: D3F30054 0D53B5AA
	buffer_load_dwordx4 a[44:47], v36, s[24:27], 0 offen offset:3072// 0000000040D0: E05C1C00 80862C24
	v_mfma_f32_16x16x32_fp8_fp8 v[84:87], a[172:173], v[220:221], v[84:87]// 0000000040D8: D3F30054 0D53B9AC
	v_mfma_f32_16x16x32_fp8_fp8 v[84:87], a[174:175], v[222:223], v[84:87]// 0000000040E0: D3F30054 0D53BDAE
	ds_read_b128 v[236:239], v2 offset:8512                    // 0000000040E8: D9FE2140 EC000002
	s_waitcnt vmcnt(28)                                        // 0000000040F0: BF8C4F7C
	v_mfma_f32_16x16x32_fp8_fp8 v[88:91], a[176:177], v[192:193], v[88:91]// 0000000040F4: D3F30058 0D6381B0
	v_mfma_f32_16x16x32_fp8_fp8 v[88:91], a[178:179], v[194:195], v[88:91]// 0000000040FC: D3F30058 0D6385B2
	buffer_load_dwordx4 a[48:51], v37, s[24:27], 0 offen       // 000000004104: E05C1000 80863025
	v_mfma_f32_16x16x32_fp8_fp8 v[88:91], a[180:181], v[196:197], v[88:91]// 00000000410C: D3F30058 0D6389B4
	v_mfma_f32_16x16x32_fp8_fp8 v[88:91], a[182:183], v[198:199], v[88:91]// 000000004114: D3F30058 0D638DB6
	ds_read_b128 v[240:243], v2 offset:9344                    // 00000000411C: D9FE2480 F0000002
	v_mfma_f32_16x16x32_fp8_fp8 v[88:91], a[184:185], v[200:201], v[88:91]// 000000004124: D3F30058 0D6391B8
	v_mfma_f32_16x16x32_fp8_fp8 v[88:91], a[186:187], v[202:203], v[88:91]// 00000000412C: D3F30058 0D6395BA
	buffer_load_dwordx4 a[52:55], v37, s[24:27], 0 offen offset:1024// 000000004134: E05C1400 80863425
	v_mfma_f32_16x16x32_fp8_fp8 v[88:91], a[188:189], v[204:205], v[88:91]// 00000000413C: D3F30058 0D6399BC
	v_mfma_f32_16x16x32_fp8_fp8 v[88:91], a[190:191], v[206:207], v[88:91]// 000000004144: D3F30058 0D639DBE
	ds_read_b128 v[244:247], v2 offset:9408                    // 00000000414C: D9FE24C0 F4000002
	v_mfma_f32_16x16x32_fp8_fp8 v[92:95], a[176:177], v[208:209], v[92:95]// 000000004154: D3F3005C 0D73A1B0
	v_mfma_f32_16x16x32_fp8_fp8 v[92:95], a[178:179], v[210:211], v[92:95]// 00000000415C: D3F3005C 0D73A5B2
	buffer_load_dwordx4 a[56:59], v37, s[24:27], 0 offen offset:2048// 000000004164: E05C1800 80863825
	v_mfma_f32_16x16x32_fp8_fp8 v[92:95], a[180:181], v[212:213], v[92:95]// 00000000416C: D3F3005C 0D73A9B4
	v_mfma_f32_16x16x32_fp8_fp8 v[92:95], a[182:183], v[214:215], v[92:95]// 000000004174: D3F3005C 0D73ADB6
	ds_read_b128 v[248:251], v2 offset:9472                    // 00000000417C: D9FE2500 F8000002
	v_mfma_f32_16x16x32_fp8_fp8 v[92:95], a[184:185], v[216:217], v[92:95]// 000000004184: D3F3005C 0D73B1B8
	v_mfma_f32_16x16x32_fp8_fp8 v[92:95], a[186:187], v[218:219], v[92:95]// 00000000418C: D3F3005C 0D73B5BA
	buffer_load_dwordx4 a[60:63], v37, s[24:27], 0 offen offset:3072// 000000004194: E05C1C00 80863C25
	v_mfma_f32_16x16x32_fp8_fp8 v[92:95], a[188:189], v[220:221], v[92:95]// 00000000419C: D3F3005C 0D73B9BC
	v_mfma_f32_16x16x32_fp8_fp8 v[92:95], a[190:191], v[222:223], v[92:95]// 0000000041A4: D3F3005C 0D73BDBE
	ds_read_b128 v[252:255], v2 offset:9536                    // 0000000041AC: D9FE2540 FC000002
	s_waitcnt vmcnt(28)                                        // 0000000041B4: BF8C4F7C
	v_mfma_f32_16x16x32_fp8_fp8 v[96:99], a[192:193], v[192:193], v[96:99]// 0000000041B8: D3F30060 0D8381C0
	v_mfma_f32_16x16x32_fp8_fp8 v[96:99], a[194:195], v[194:195], v[96:99]// 0000000041C0: D3F30060 0D8385C2
	buffer_load_dwordx4 a[64:67], v38, s[24:27], 0 offen       // 0000000041C8: E05C1000 80864026
	v_mfma_f32_16x16x32_fp8_fp8 v[96:99], a[196:197], v[196:197], v[96:99]// 0000000041D0: D3F30060 0D8389C4
	v_mfma_f32_16x16x32_fp8_fp8 v[96:99], a[198:199], v[198:199], v[96:99]// 0000000041D8: D3F30060 0D838DC6
	v_mfma_f32_16x16x32_fp8_fp8 v[96:99], a[200:201], v[200:201], v[96:99]// 0000000041E0: D3F30060 0D8391C8
	v_mfma_f32_16x16x32_fp8_fp8 v[96:99], a[202:203], v[202:203], v[96:99]// 0000000041E8: D3F30060 0D8395CA
	buffer_load_dwordx4 a[68:71], v38, s[24:27], 0 offen offset:1024// 0000000041F0: E05C1400 80864426
	v_mfma_f32_16x16x32_fp8_fp8 v[96:99], a[204:205], v[204:205], v[96:99]// 0000000041F8: D3F30060 0D8399CC
	v_mfma_f32_16x16x32_fp8_fp8 v[96:99], a[206:207], v[206:207], v[96:99]// 000000004200: D3F30060 0D839DCE
	v_mfma_f32_16x16x32_fp8_fp8 v[100:103], a[192:193], v[208:209], v[100:103]// 000000004208: D3F30064 0D93A1C0
	v_mfma_f32_16x16x32_fp8_fp8 v[100:103], a[194:195], v[210:211], v[100:103]// 000000004210: D3F30064 0D93A5C2
	buffer_load_dwordx4 a[72:75], v38, s[24:27], 0 offen offset:2048// 000000004218: E05C1800 80864826
	v_mfma_f32_16x16x32_fp8_fp8 v[100:103], a[196:197], v[212:213], v[100:103]// 000000004220: D3F30064 0D93A9C4
	v_mfma_f32_16x16x32_fp8_fp8 v[100:103], a[198:199], v[214:215], v[100:103]// 000000004228: D3F30064 0D93ADC6
	v_mfma_f32_16x16x32_fp8_fp8 v[100:103], a[200:201], v[216:217], v[100:103]// 000000004230: D3F30064 0D93B1C8
	v_mfma_f32_16x16x32_fp8_fp8 v[100:103], a[202:203], v[218:219], v[100:103]// 000000004238: D3F30064 0D93B5CA
	buffer_load_dwordx4 a[76:79], v38, s[24:27], 0 offen offset:3072// 000000004240: E05C1C00 80864C26
	v_mfma_f32_16x16x32_fp8_fp8 v[100:103], a[204:205], v[220:221], v[100:103]// 000000004248: D3F30064 0D93B9CC
	v_mfma_f32_16x16x32_fp8_fp8 v[100:103], a[206:207], v[222:223], v[100:103]// 000000004250: D3F30064 0D93BDCE
	s_waitcnt vmcnt(28)                                        // 000000004258: BF8C4F7C
	v_mfma_f32_16x16x32_fp8_fp8 v[104:107], a[208:209], v[192:193], v[104:107]// 00000000425C: D3F30068 0DA381D0
	v_mfma_f32_16x16x32_fp8_fp8 v[104:107], a[210:211], v[194:195], v[104:107]// 000000004264: D3F30068 0DA385D2
	buffer_load_dwordx4 a[80:83], v39, s[24:27], 0 offen       // 00000000426C: E05C1000 80865027
	v_mfma_f32_16x16x32_fp8_fp8 v[104:107], a[212:213], v[196:197], v[104:107]// 000000004274: D3F30068 0DA389D4
	v_mfma_f32_16x16x32_fp8_fp8 v[104:107], a[214:215], v[198:199], v[104:107]// 00000000427C: D3F30068 0DA38DD6
	v_mfma_f32_16x16x32_fp8_fp8 v[104:107], a[216:217], v[200:201], v[104:107]// 000000004284: D3F30068 0DA391D8
	v_mfma_f32_16x16x32_fp8_fp8 v[104:107], a[218:219], v[202:203], v[104:107]// 00000000428C: D3F30068 0DA395DA
	buffer_load_dwordx4 a[84:87], v39, s[24:27], 0 offen offset:1024// 000000004294: E05C1400 80865427
	v_mfma_f32_16x16x32_fp8_fp8 v[104:107], a[220:221], v[204:205], v[104:107]// 00000000429C: D3F30068 0DA399DC
	v_mfma_f32_16x16x32_fp8_fp8 v[104:107], a[222:223], v[206:207], v[104:107]// 0000000042A4: D3F30068 0DA39DDE
	v_mfma_f32_16x16x32_fp8_fp8 v[108:111], a[208:209], v[208:209], v[108:111]// 0000000042AC: D3F3006C 0DB3A1D0
	v_mfma_f32_16x16x32_fp8_fp8 v[108:111], a[210:211], v[210:211], v[108:111]// 0000000042B4: D3F3006C 0DB3A5D2
	buffer_load_dwordx4 a[88:91], v39, s[24:27], 0 offen offset:2048// 0000000042BC: E05C1800 80865827
	v_mfma_f32_16x16x32_fp8_fp8 v[108:111], a[212:213], v[212:213], v[108:111]// 0000000042C4: D3F3006C 0DB3A9D4
	v_mfma_f32_16x16x32_fp8_fp8 v[108:111], a[214:215], v[214:215], v[108:111]// 0000000042CC: D3F3006C 0DB3ADD6
	v_mfma_f32_16x16x32_fp8_fp8 v[108:111], a[216:217], v[216:217], v[108:111]// 0000000042D4: D3F3006C 0DB3B1D8
	v_mfma_f32_16x16x32_fp8_fp8 v[108:111], a[218:219], v[218:219], v[108:111]// 0000000042DC: D3F3006C 0DB3B5DA
	buffer_load_dwordx4 a[92:95], v39, s[24:27], 0 offen offset:3072// 0000000042E4: E05C1C00 80865C27
	v_mfma_f32_16x16x32_fp8_fp8 v[108:111], a[220:221], v[220:221], v[108:111]// 0000000042EC: D3F3006C 0DB3B9DC
	v_mfma_f32_16x16x32_fp8_fp8 v[108:111], a[222:223], v[222:223], v[108:111]// 0000000042F4: D3F3006C 0DB3BDDE
	s_waitcnt vmcnt(28)                                        // 0000000042FC: BF8C4F7C
	v_mfma_f32_16x16x32_fp8_fp8 v[112:115], a[224:225], v[192:193], v[112:115]// 000000004300: D3F30070 0DC381E0
	v_mfma_f32_16x16x32_fp8_fp8 v[112:115], a[226:227], v[194:195], v[112:115]// 000000004308: D3F30070 0DC385E2
	buffer_load_dwordx4 a[96:99], v40, s[24:27], 0 offen       // 000000004310: E05C1000 80866028
	v_mfma_f32_16x16x32_fp8_fp8 v[112:115], a[228:229], v[196:197], v[112:115]// 000000004318: D3F30070 0DC389E4
	v_mfma_f32_16x16x32_fp8_fp8 v[112:115], a[230:231], v[198:199], v[112:115]// 000000004320: D3F30070 0DC38DE6
	v_mfma_f32_16x16x32_fp8_fp8 v[112:115], a[232:233], v[200:201], v[112:115]// 000000004328: D3F30070 0DC391E8
	v_mfma_f32_16x16x32_fp8_fp8 v[112:115], a[234:235], v[202:203], v[112:115]// 000000004330: D3F30070 0DC395EA
	buffer_load_dwordx4 a[100:103], v40, s[24:27], 0 offen offset:1024// 000000004338: E05C1400 80866428
	v_mfma_f32_16x16x32_fp8_fp8 v[112:115], a[236:237], v[204:205], v[112:115]// 000000004340: D3F30070 0DC399EC
	v_mfma_f32_16x16x32_fp8_fp8 v[112:115], a[238:239], v[206:207], v[112:115]// 000000004348: D3F30070 0DC39DEE
	v_mfma_f32_16x16x32_fp8_fp8 v[116:119], a[224:225], v[208:209], v[116:119]// 000000004350: D3F30074 0DD3A1E0
	v_mfma_f32_16x16x32_fp8_fp8 v[116:119], a[226:227], v[210:211], v[116:119]// 000000004358: D3F30074 0DD3A5E2
	buffer_load_dwordx4 a[104:107], v40, s[24:27], 0 offen offset:2048// 000000004360: E05C1800 80866828
	v_mfma_f32_16x16x32_fp8_fp8 v[116:119], a[228:229], v[212:213], v[116:119]// 000000004368: D3F30074 0DD3A9E4
	v_mfma_f32_16x16x32_fp8_fp8 v[116:119], a[230:231], v[214:215], v[116:119]// 000000004370: D3F30074 0DD3ADE6
	v_mfma_f32_16x16x32_fp8_fp8 v[116:119], a[232:233], v[216:217], v[116:119]// 000000004378: D3F30074 0DD3B1E8
	v_mfma_f32_16x16x32_fp8_fp8 v[116:119], a[234:235], v[218:219], v[116:119]// 000000004380: D3F30074 0DD3B5EA
	buffer_load_dwordx4 a[108:111], v40, s[24:27], 0 offen offset:3072// 000000004388: E05C1C00 80866C28
	v_mfma_f32_16x16x32_fp8_fp8 v[116:119], a[236:237], v[220:221], v[116:119]// 000000004390: D3F30074 0DD3B9EC
	v_mfma_f32_16x16x32_fp8_fp8 v[116:119], a[238:239], v[222:223], v[116:119]// 000000004398: D3F30074 0DD3BDEE
	s_waitcnt vmcnt(28)                                        // 0000000043A0: BF8C4F7C
	v_mfma_f32_16x16x32_fp8_fp8 v[120:123], a[240:241], v[192:193], v[120:123]// 0000000043A4: D3F30078 0DE381F0
	v_mfma_f32_16x16x32_fp8_fp8 v[120:123], a[242:243], v[194:195], v[120:123]// 0000000043AC: D3F30078 0DE385F2
	buffer_load_dwordx4 a[112:115], v41, s[24:27], 0 offen     // 0000000043B4: E05C1000 80867029
	v_mfma_f32_16x16x32_fp8_fp8 v[120:123], a[244:245], v[196:197], v[120:123]// 0000000043BC: D3F30078 0DE389F4
	v_mfma_f32_16x16x32_fp8_fp8 v[120:123], a[246:247], v[198:199], v[120:123]// 0000000043C4: D3F30078 0DE38DF6
	v_mfma_f32_16x16x32_fp8_fp8 v[120:123], a[248:249], v[200:201], v[120:123]// 0000000043CC: D3F30078 0DE391F8
	v_mfma_f32_16x16x32_fp8_fp8 v[120:123], a[250:251], v[202:203], v[120:123]// 0000000043D4: D3F30078 0DE395FA
	buffer_load_dwordx4 a[116:119], v41, s[24:27], 0 offen offset:1024// 0000000043DC: E05C1400 80867429
	v_mfma_f32_16x16x32_fp8_fp8 v[120:123], a[252:253], v[204:205], v[120:123]// 0000000043E4: D3F30078 0DE399FC
	v_mfma_f32_16x16x32_fp8_fp8 v[120:123], a[254:255], v[206:207], v[120:123]// 0000000043EC: D3F30078 0DE39DFE
	v_mfma_f32_16x16x32_fp8_fp8 v[124:127], a[240:241], v[208:209], v[124:127]// 0000000043F4: D3F3007C 0DF3A1F0
	v_mfma_f32_16x16x32_fp8_fp8 v[124:127], a[242:243], v[210:211], v[124:127]// 0000000043FC: D3F3007C 0DF3A5F2
	buffer_load_dwordx4 a[120:123], v41, s[24:27], 0 offen offset:2048// 000000004404: E05C1800 80867829
	v_mfma_f32_16x16x32_fp8_fp8 v[124:127], a[244:245], v[212:213], v[124:127]// 00000000440C: D3F3007C 0DF3A9F4
	v_mfma_f32_16x16x32_fp8_fp8 v[124:127], a[246:247], v[214:215], v[124:127]// 000000004414: D3F3007C 0DF3ADF6
	v_mfma_f32_16x16x32_fp8_fp8 v[124:127], a[248:249], v[216:217], v[124:127]// 00000000441C: D3F3007C 0DF3B1F8
	v_mfma_f32_16x16x32_fp8_fp8 v[124:127], a[250:251], v[218:219], v[124:127]// 000000004424: D3F3007C 0DF3B5FA
	buffer_load_dwordx4 a[124:127], v41, s[24:27], 0 offen offset:3072// 00000000442C: E05C1C00 80867C29
	v_mfma_f32_16x16x32_fp8_fp8 v[124:127], a[252:253], v[220:221], v[124:127]// 000000004434: D3F3007C 0DF3B9FC
	v_mfma_f32_16x16x32_fp8_fp8 v[124:127], a[254:255], v[222:223], v[124:127]// 00000000443C: D3F3007C 0DF3BDFE
	s_add_u32 s60, 0x200, s80                                  // 000000004444: 803C50FF 00000200
	s_cmp_lt_u32 s60, s81                                      // 00000000444C: BF0A513C
	s_cselect_b32 s57, s57, 0                                  // 000000004450: 85398039
	s_add_u32 s60, 0x200, s80                                  // 000000004454: 803C50FF 00000200
	s_cmp_lt_u32 s60, s81                                      // 00000000445C: BF0A513C
	s_cselect_b32 s58, s58, 0                                  // 000000004460: 853A803A
	s_add_u32 s20, s57, s20                                    // 000000004464: 80141439
	s_addc_u32 s21, 0, s21                                     // 000000004468: 82151580
	s_add_u32 s24, s58, s24                                    // 00000000446C: 8018183A
	s_addc_u32 s25, 0, s25                                     // 000000004470: 82191980
	s_add_u32 s92, s90, s92                                    // 000000004474: 805C5C5A
	s_addc_u32 s93, 0, s93                                     // 000000004478: 825D5D80
	s_addk_i32 s80, 0x100                                      // 00000000447C: B7500100
	s_cmp_lt_i32 s80, s81                                      // 000000004480: BF045150
	s_cbranch_scc0 label_0873                                  // 000000004484: BF8402D1
	s_waitcnt vmcnt(24) lgkmcnt(0)                             // 000000004488: BF8C4078
	s_barrier                                                  // 00000000448C: BF8A0000
	v_mfma_f32_16x16x32_fp8_fp8 v[128:131], a[0:1], v[224:225], v[128:131]// 000000004490: D3F30080 0E03C100
	v_mfma_f32_16x16x32_fp8_fp8 v[128:131], a[2:3], v[226:227], v[128:131]// 000000004498: D3F30080 0E03C502
	buffer_load_dwordx4 a[128:131], v34, s[92:95], 0 offen     // 0000000044A0: E05C1000 80978022
	v_mfma_f32_16x16x32_fp8_fp8 v[128:131], a[4:5], v[228:229], v[128:131]// 0000000044A8: D3F30080 0E03C904
	v_mfma_f32_16x16x32_fp8_fp8 v[128:131], a[6:7], v[230:231], v[128:131]// 0000000044B0: D3F30080 0E03CD06
	buffer_load_dword v26, s[20:23], 0 offen lds               // 0000000044B8: E0511000 8005001A
	s_add_u32 m0, 0x100, s50                                   // 0000000044C0: 807C32FF 00000100
	v_mfma_f32_16x16x32_fp8_fp8 v[128:131], a[8:9], v[232:233], v[128:131]// 0000000044C8: D3F30080 0E03D108
	v_mfma_f32_16x16x32_fp8_fp8 v[128:131], a[10:11], v[234:235], v[128:131]// 0000000044D0: D3F30080 0E03D50A
	buffer_load_dwordx4 a[132:135], v34, s[92:95], 0 offen offset:1024// 0000000044D8: E05C1400 80978422
	v_mfma_f32_16x16x32_fp8_fp8 v[128:131], a[12:13], v[236:237], v[128:131]// 0000000044E0: D3F30080 0E03D90C
	v_mfma_f32_16x16x32_fp8_fp8 v[128:131], a[14:15], v[238:239], v[128:131]// 0000000044E8: D3F30080 0E03DD0E
	buffer_load_dword v27, s[20:23], 0 offen lds               // 0000000044F0: E0511000 8005001B
	s_add_u32 m0, 0x200, s50                                   // 0000000044F8: 807C32FF 00000200
	v_mfma_f32_16x16x32_fp8_fp8 v[132:135], a[0:1], v[240:241], v[132:135]// 000000004500: D3F30084 0E13E100
	v_mfma_f32_16x16x32_fp8_fp8 v[132:135], a[2:3], v[242:243], v[132:135]// 000000004508: D3F30084 0E13E502
	buffer_load_dwordx4 a[136:139], v34, s[92:95], 0 offen offset:2048// 000000004510: E05C1800 80978822
	v_mfma_f32_16x16x32_fp8_fp8 v[132:135], a[4:5], v[244:245], v[132:135]// 000000004518: D3F30084 0E13E904
	v_mfma_f32_16x16x32_fp8_fp8 v[132:135], a[6:7], v[246:247], v[132:135]// 000000004520: D3F30084 0E13ED06
	buffer_load_dword v28, s[20:23], 0 offen lds               // 000000004528: E0511000 8005001C
	s_add_u32 m0, 0x300, s50                                   // 000000004530: 807C32FF 00000300
	v_mfma_f32_16x16x32_fp8_fp8 v[132:135], a[8:9], v[248:249], v[132:135]// 000000004538: D3F30084 0E13F108
	v_mfma_f32_16x16x32_fp8_fp8 v[132:135], a[10:11], v[250:251], v[132:135]// 000000004540: D3F30084 0E13F50A
	buffer_load_dwordx4 a[140:143], v34, s[92:95], 0 offen offset:3072// 000000004548: E05C1C00 80978C22
	v_mfma_f32_16x16x32_fp8_fp8 v[132:135], a[12:13], v[252:253], v[132:135]// 000000004550: D3F30084 0E13F90C
	v_mfma_f32_16x16x32_fp8_fp8 v[132:135], a[14:15], v[254:255], v[132:135]// 000000004558: D3F30084 0E13FD0E
	buffer_load_dword v29, s[20:23], 0 offen lds               // 000000004560: E0511000 8005001D
	s_add_u32 m0, 0x400, s50                                   // 000000004568: 807C32FF 00000400
	v_mfma_f32_16x16x32_fp8_fp8 v[136:139], a[16:17], v[224:225], v[136:139]// 000000004570: D3F30088 0E23C110
	v_mfma_f32_16x16x32_fp8_fp8 v[136:139], a[18:19], v[226:227], v[136:139]// 000000004578: D3F30088 0E23C512
	buffer_load_dwordx4 a[144:147], v35, s[92:95], 0 offen     // 000000004580: E05C1000 80979023
	v_mfma_f32_16x16x32_fp8_fp8 v[136:139], a[20:21], v[228:229], v[136:139]// 000000004588: D3F30088 0E23C914
	v_mfma_f32_16x16x32_fp8_fp8 v[136:139], a[22:23], v[230:231], v[136:139]// 000000004590: D3F30088 0E23CD16
	buffer_load_dword v30, s[20:23], 0 offen lds               // 000000004598: E0511000 8005001E
	s_add_u32 m0, 0x500, s50                                   // 0000000045A0: 807C32FF 00000500
	v_mfma_f32_16x16x32_fp8_fp8 v[136:139], a[24:25], v[232:233], v[136:139]// 0000000045A8: D3F30088 0E23D118
	v_mfma_f32_16x16x32_fp8_fp8 v[136:139], a[26:27], v[234:235], v[136:139]// 0000000045B0: D3F30088 0E23D51A
	buffer_load_dwordx4 a[148:151], v35, s[92:95], 0 offen offset:1024// 0000000045B8: E05C1400 80979423
	v_mfma_f32_16x16x32_fp8_fp8 v[136:139], a[28:29], v[236:237], v[136:139]// 0000000045C0: D3F30088 0E23D91C
	v_mfma_f32_16x16x32_fp8_fp8 v[136:139], a[30:31], v[238:239], v[136:139]// 0000000045C8: D3F30088 0E23DD1E
	buffer_load_dword v31, s[20:23], 0 offen lds               // 0000000045D0: E0511000 8005001F
	s_add_u32 m0, 0x600, s50                                   // 0000000045D8: 807C32FF 00000600
	v_mfma_f32_16x16x32_fp8_fp8 v[140:143], a[16:17], v[240:241], v[140:143]// 0000000045E0: D3F3008C 0E33E110
	v_mfma_f32_16x16x32_fp8_fp8 v[140:143], a[18:19], v[242:243], v[140:143]// 0000000045E8: D3F3008C 0E33E512
	buffer_load_dwordx4 a[152:155], v35, s[92:95], 0 offen offset:2048// 0000000045F0: E05C1800 80979823
	v_mfma_f32_16x16x32_fp8_fp8 v[140:143], a[20:21], v[244:245], v[140:143]// 0000000045F8: D3F3008C 0E33E914
	v_mfma_f32_16x16x32_fp8_fp8 v[140:143], a[22:23], v[246:247], v[140:143]// 000000004600: D3F3008C 0E33ED16
	buffer_load_dword v32, s[20:23], 0 offen lds               // 000000004608: E0511000 80050020
	s_add_u32 m0, 0x700, s50                                   // 000000004610: 807C32FF 00000700
	v_mfma_f32_16x16x32_fp8_fp8 v[140:143], a[24:25], v[248:249], v[140:143]// 000000004618: D3F3008C 0E33F118
	v_mfma_f32_16x16x32_fp8_fp8 v[140:143], a[26:27], v[250:251], v[140:143]// 000000004620: D3F3008C 0E33F51A
	buffer_load_dwordx4 a[156:159], v35, s[92:95], 0 offen offset:3072// 000000004628: E05C1C00 80979C23
	v_mfma_f32_16x16x32_fp8_fp8 v[140:143], a[28:29], v[252:253], v[140:143]// 000000004630: D3F3008C 0E33F91C
	v_mfma_f32_16x16x32_fp8_fp8 v[140:143], a[30:31], v[254:255], v[140:143]// 000000004638: D3F3008C 0E33FD1E
	buffer_load_dword v33, s[20:23], 0 offen lds               // 000000004640: E0511000 80050021
	s_add_u32 m0, 0, s51                                       // 000000004648: 807C3380
	s_waitcnt vmcnt(36)                                        // 00000000464C: BF8C8F74
	v_mfma_f32_16x16x32_fp8_fp8 v[144:147], a[32:33], v[224:225], v[144:147]// 000000004650: D3F30090 0E43C120
	v_mfma_f32_16x16x32_fp8_fp8 v[144:147], a[34:35], v[226:227], v[144:147]// 000000004658: D3F30090 0E43C522
	buffer_load_dwordx4 a[160:163], v36, s[92:95], 0 offen     // 000000004660: E05C1000 8097A024
	v_mfma_f32_16x16x32_fp8_fp8 v[144:147], a[36:37], v[228:229], v[144:147]// 000000004668: D3F30090 0E43C924
	v_mfma_f32_16x16x32_fp8_fp8 v[144:147], a[38:39], v[230:231], v[144:147]// 000000004670: D3F30090 0E43CD26
	v_mfma_f32_16x16x32_fp8_fp8 v[144:147], a[40:41], v[232:233], v[144:147]// 000000004678: D3F30090 0E43D128
	v_mfma_f32_16x16x32_fp8_fp8 v[144:147], a[42:43], v[234:235], v[144:147]// 000000004680: D3F30090 0E43D52A
	buffer_load_dwordx4 a[164:167], v36, s[92:95], 0 offen offset:1024// 000000004688: E05C1400 8097A424
	v_mfma_f32_16x16x32_fp8_fp8 v[144:147], a[44:45], v[236:237], v[144:147]// 000000004690: D3F30090 0E43D92C
	v_mfma_f32_16x16x32_fp8_fp8 v[144:147], a[46:47], v[238:239], v[144:147]// 000000004698: D3F30090 0E43DD2E
	v_mfma_f32_16x16x32_fp8_fp8 v[148:151], a[32:33], v[240:241], v[148:151]// 0000000046A0: D3F30094 0E53E120
	v_mfma_f32_16x16x32_fp8_fp8 v[148:151], a[34:35], v[242:243], v[148:151]// 0000000046A8: D3F30094 0E53E522
	buffer_load_dwordx4 a[168:171], v36, s[92:95], 0 offen offset:2048// 0000000046B0: E05C1800 8097A824
	v_mfma_f32_16x16x32_fp8_fp8 v[148:151], a[36:37], v[244:245], v[148:151]// 0000000046B8: D3F30094 0E53E924
	v_mfma_f32_16x16x32_fp8_fp8 v[148:151], a[38:39], v[246:247], v[148:151]// 0000000046C0: D3F30094 0E53ED26
	v_mfma_f32_16x16x32_fp8_fp8 v[148:151], a[40:41], v[248:249], v[148:151]// 0000000046C8: D3F30094 0E53F128
	v_mfma_f32_16x16x32_fp8_fp8 v[148:151], a[42:43], v[250:251], v[148:151]// 0000000046D0: D3F30094 0E53F52A
	buffer_load_dwordx4 a[172:175], v36, s[92:95], 0 offen offset:3072// 0000000046D8: E05C1C00 8097AC24
	v_mfma_f32_16x16x32_fp8_fp8 v[148:151], a[44:45], v[252:253], v[148:151]// 0000000046E0: D3F30094 0E53F92C
	v_mfma_f32_16x16x32_fp8_fp8 v[148:151], a[46:47], v[254:255], v[148:151]// 0000000046E8: D3F30094 0E53FD2E
	s_waitcnt vmcnt(36)                                        // 0000000046F0: BF8C8F74
	v_mfma_f32_16x16x32_fp8_fp8 v[152:155], a[48:49], v[224:225], v[152:155]// 0000000046F4: D3F30098 0E63C130
	v_mfma_f32_16x16x32_fp8_fp8 v[152:155], a[50:51], v[226:227], v[152:155]// 0000000046FC: D3F30098 0E63C532
	buffer_load_dwordx4 a[176:179], v37, s[92:95], 0 offen     // 000000004704: E05C1000 8097B025
	v_mfma_f32_16x16x32_fp8_fp8 v[152:155], a[52:53], v[228:229], v[152:155]// 00000000470C: D3F30098 0E63C934
	v_mfma_f32_16x16x32_fp8_fp8 v[152:155], a[54:55], v[230:231], v[152:155]// 000000004714: D3F30098 0E63CD36
	v_mfma_f32_16x16x32_fp8_fp8 v[152:155], a[56:57], v[232:233], v[152:155]// 00000000471C: D3F30098 0E63D138
	v_mfma_f32_16x16x32_fp8_fp8 v[152:155], a[58:59], v[234:235], v[152:155]// 000000004724: D3F30098 0E63D53A
	buffer_load_dwordx4 a[180:183], v37, s[92:95], 0 offen offset:1024// 00000000472C: E05C1400 8097B425
	v_mfma_f32_16x16x32_fp8_fp8 v[152:155], a[60:61], v[236:237], v[152:155]// 000000004734: D3F30098 0E63D93C
	v_mfma_f32_16x16x32_fp8_fp8 v[152:155], a[62:63], v[238:239], v[152:155]// 00000000473C: D3F30098 0E63DD3E
	v_mfma_f32_16x16x32_fp8_fp8 v[156:159], a[48:49], v[240:241], v[156:159]// 000000004744: D3F3009C 0E73E130
	v_mfma_f32_16x16x32_fp8_fp8 v[156:159], a[50:51], v[242:243], v[156:159]// 00000000474C: D3F3009C 0E73E532
	buffer_load_dwordx4 a[184:187], v37, s[92:95], 0 offen offset:2048// 000000004754: E05C1800 8097B825
	v_mfma_f32_16x16x32_fp8_fp8 v[156:159], a[52:53], v[244:245], v[156:159]// 00000000475C: D3F3009C 0E73E934
	v_mfma_f32_16x16x32_fp8_fp8 v[156:159], a[54:55], v[246:247], v[156:159]// 000000004764: D3F3009C 0E73ED36
	v_mfma_f32_16x16x32_fp8_fp8 v[156:159], a[56:57], v[248:249], v[156:159]// 00000000476C: D3F3009C 0E73F138
	v_mfma_f32_16x16x32_fp8_fp8 v[156:159], a[58:59], v[250:251], v[156:159]// 000000004774: D3F3009C 0E73F53A
	buffer_load_dwordx4 a[188:191], v37, s[92:95], 0 offen offset:3072// 00000000477C: E05C1C00 8097BC25
	v_mfma_f32_16x16x32_fp8_fp8 v[156:159], a[60:61], v[252:253], v[156:159]// 000000004784: D3F3009C 0E73F93C
	v_mfma_f32_16x16x32_fp8_fp8 v[156:159], a[62:63], v[254:255], v[156:159]// 00000000478C: D3F3009C 0E73FD3E
	s_waitcnt vmcnt(36)                                        // 000000004794: BF8C8F74
	v_mfma_f32_16x16x32_fp8_fp8 v[160:163], a[64:65], v[224:225], v[160:163]// 000000004798: D3F300A0 0E83C140
	v_mfma_f32_16x16x32_fp8_fp8 v[160:163], a[66:67], v[226:227], v[160:163]// 0000000047A0: D3F300A0 0E83C542
	buffer_load_dwordx4 a[192:195], v38, s[92:95], 0 offen     // 0000000047A8: E05C1000 8097C026
	v_mfma_f32_16x16x32_fp8_fp8 v[160:163], a[68:69], v[228:229], v[160:163]// 0000000047B0: D3F300A0 0E83C944
	v_mfma_f32_16x16x32_fp8_fp8 v[160:163], a[70:71], v[230:231], v[160:163]// 0000000047B8: D3F300A0 0E83CD46
	v_mfma_f32_16x16x32_fp8_fp8 v[160:163], a[72:73], v[232:233], v[160:163]// 0000000047C0: D3F300A0 0E83D148
	v_mfma_f32_16x16x32_fp8_fp8 v[160:163], a[74:75], v[234:235], v[160:163]// 0000000047C8: D3F300A0 0E83D54A
	buffer_load_dwordx4 a[196:199], v38, s[92:95], 0 offen offset:1024// 0000000047D0: E05C1400 8097C426
	v_mfma_f32_16x16x32_fp8_fp8 v[160:163], a[76:77], v[236:237], v[160:163]// 0000000047D8: D3F300A0 0E83D94C
	v_mfma_f32_16x16x32_fp8_fp8 v[160:163], a[78:79], v[238:239], v[160:163]// 0000000047E0: D3F300A0 0E83DD4E
	v_mfma_f32_16x16x32_fp8_fp8 v[164:167], a[64:65], v[240:241], v[164:167]// 0000000047E8: D3F300A4 0E93E140
	v_mfma_f32_16x16x32_fp8_fp8 v[164:167], a[66:67], v[242:243], v[164:167]// 0000000047F0: D3F300A4 0E93E542
	buffer_load_dwordx4 a[200:203], v38, s[92:95], 0 offen offset:2048// 0000000047F8: E05C1800 8097C826
	v_mfma_f32_16x16x32_fp8_fp8 v[164:167], a[68:69], v[244:245], v[164:167]// 000000004800: D3F300A4 0E93E944
	v_mfma_f32_16x16x32_fp8_fp8 v[164:167], a[70:71], v[246:247], v[164:167]// 000000004808: D3F300A4 0E93ED46
	v_mfma_f32_16x16x32_fp8_fp8 v[164:167], a[72:73], v[248:249], v[164:167]// 000000004810: D3F300A4 0E93F148
	v_mfma_f32_16x16x32_fp8_fp8 v[164:167], a[74:75], v[250:251], v[164:167]// 000000004818: D3F300A4 0E93F54A
	buffer_load_dwordx4 a[204:207], v38, s[92:95], 0 offen offset:3072// 000000004820: E05C1C00 8097CC26
	v_mfma_f32_16x16x32_fp8_fp8 v[164:167], a[76:77], v[252:253], v[164:167]// 000000004828: D3F300A4 0E93F94C
	v_mfma_f32_16x16x32_fp8_fp8 v[164:167], a[78:79], v[254:255], v[164:167]// 000000004830: D3F300A4 0E93FD4E
	s_waitcnt vmcnt(36)                                        // 000000004838: BF8C8F74
	v_mfma_f32_16x16x32_fp8_fp8 v[168:171], a[80:81], v[224:225], v[168:171]// 00000000483C: D3F300A8 0EA3C150
	v_mfma_f32_16x16x32_fp8_fp8 v[168:171], a[82:83], v[226:227], v[168:171]// 000000004844: D3F300A8 0EA3C552
	buffer_load_dwordx4 a[208:211], v39, s[92:95], 0 offen     // 00000000484C: E05C1000 8097D027
	v_mfma_f32_16x16x32_fp8_fp8 v[168:171], a[84:85], v[228:229], v[168:171]// 000000004854: D3F300A8 0EA3C954
	v_mfma_f32_16x16x32_fp8_fp8 v[168:171], a[86:87], v[230:231], v[168:171]// 00000000485C: D3F300A8 0EA3CD56
	v_mfma_f32_16x16x32_fp8_fp8 v[168:171], a[88:89], v[232:233], v[168:171]// 000000004864: D3F300A8 0EA3D158
	v_mfma_f32_16x16x32_fp8_fp8 v[168:171], a[90:91], v[234:235], v[168:171]// 00000000486C: D3F300A8 0EA3D55A
	buffer_load_dwordx4 a[212:215], v39, s[92:95], 0 offen offset:1024// 000000004874: E05C1400 8097D427
	v_mfma_f32_16x16x32_fp8_fp8 v[168:171], a[92:93], v[236:237], v[168:171]// 00000000487C: D3F300A8 0EA3D95C
	v_mfma_f32_16x16x32_fp8_fp8 v[168:171], a[94:95], v[238:239], v[168:171]// 000000004884: D3F300A8 0EA3DD5E
	v_mfma_f32_16x16x32_fp8_fp8 v[172:175], a[80:81], v[240:241], v[172:175]// 00000000488C: D3F300AC 0EB3E150
	v_mfma_f32_16x16x32_fp8_fp8 v[172:175], a[82:83], v[242:243], v[172:175]// 000000004894: D3F300AC 0EB3E552
	buffer_load_dwordx4 a[216:219], v39, s[92:95], 0 offen offset:2048// 00000000489C: E05C1800 8097D827
	v_mfma_f32_16x16x32_fp8_fp8 v[172:175], a[84:85], v[244:245], v[172:175]// 0000000048A4: D3F300AC 0EB3E954
	v_mfma_f32_16x16x32_fp8_fp8 v[172:175], a[86:87], v[246:247], v[172:175]// 0000000048AC: D3F300AC 0EB3ED56
	v_mfma_f32_16x16x32_fp8_fp8 v[172:175], a[88:89], v[248:249], v[172:175]// 0000000048B4: D3F300AC 0EB3F158
	v_mfma_f32_16x16x32_fp8_fp8 v[172:175], a[90:91], v[250:251], v[172:175]// 0000000048BC: D3F300AC 0EB3F55A
	buffer_load_dwordx4 a[220:223], v39, s[92:95], 0 offen offset:3072// 0000000048C4: E05C1C00 8097DC27
	v_mfma_f32_16x16x32_fp8_fp8 v[172:175], a[92:93], v[252:253], v[172:175]// 0000000048CC: D3F300AC 0EB3F95C
	v_mfma_f32_16x16x32_fp8_fp8 v[172:175], a[94:95], v[254:255], v[172:175]// 0000000048D4: D3F300AC 0EB3FD5E
	s_waitcnt vmcnt(36)                                        // 0000000048DC: BF8C8F74
	v_mfma_f32_16x16x32_fp8_fp8 v[176:179], a[96:97], v[224:225], v[176:179]// 0000000048E0: D3F300B0 0EC3C160
	v_mfma_f32_16x16x32_fp8_fp8 v[176:179], a[98:99], v[226:227], v[176:179]// 0000000048E8: D3F300B0 0EC3C562
	buffer_load_dwordx4 a[224:227], v40, s[92:95], 0 offen     // 0000000048F0: E05C1000 8097E028
	v_mfma_f32_16x16x32_fp8_fp8 v[176:179], a[100:101], v[228:229], v[176:179]// 0000000048F8: D3F300B0 0EC3C964
	v_mfma_f32_16x16x32_fp8_fp8 v[176:179], a[102:103], v[230:231], v[176:179]// 000000004900: D3F300B0 0EC3CD66
	v_mfma_f32_16x16x32_fp8_fp8 v[176:179], a[104:105], v[232:233], v[176:179]// 000000004908: D3F300B0 0EC3D168
	v_mfma_f32_16x16x32_fp8_fp8 v[176:179], a[106:107], v[234:235], v[176:179]// 000000004910: D3F300B0 0EC3D56A
	buffer_load_dwordx4 a[228:231], v40, s[92:95], 0 offen offset:1024// 000000004918: E05C1400 8097E428
	v_mfma_f32_16x16x32_fp8_fp8 v[176:179], a[108:109], v[236:237], v[176:179]// 000000004920: D3F300B0 0EC3D96C
	v_mfma_f32_16x16x32_fp8_fp8 v[176:179], a[110:111], v[238:239], v[176:179]// 000000004928: D3F300B0 0EC3DD6E
	v_mfma_f32_16x16x32_fp8_fp8 v[180:183], a[96:97], v[240:241], v[180:183]// 000000004930: D3F300B4 0ED3E160
	v_mfma_f32_16x16x32_fp8_fp8 v[180:183], a[98:99], v[242:243], v[180:183]// 000000004938: D3F300B4 0ED3E562
	buffer_load_dwordx4 a[232:235], v40, s[92:95], 0 offen offset:2048// 000000004940: E05C1800 8097E828
	v_mfma_f32_16x16x32_fp8_fp8 v[180:183], a[100:101], v[244:245], v[180:183]// 000000004948: D3F300B4 0ED3E964
	v_mfma_f32_16x16x32_fp8_fp8 v[180:183], a[102:103], v[246:247], v[180:183]// 000000004950: D3F300B4 0ED3ED66
	v_mfma_f32_16x16x32_fp8_fp8 v[180:183], a[104:105], v[248:249], v[180:183]// 000000004958: D3F300B4 0ED3F168
	v_mfma_f32_16x16x32_fp8_fp8 v[180:183], a[106:107], v[250:251], v[180:183]// 000000004960: D3F300B4 0ED3F56A
	buffer_load_dwordx4 a[236:239], v40, s[92:95], 0 offen offset:3072// 000000004968: E05C1C00 8097EC28
	v_mfma_f32_16x16x32_fp8_fp8 v[180:183], a[108:109], v[252:253], v[180:183]// 000000004970: D3F300B4 0ED3F96C
	v_mfma_f32_16x16x32_fp8_fp8 v[180:183], a[110:111], v[254:255], v[180:183]// 000000004978: D3F300B4 0ED3FD6E
	s_waitcnt vmcnt(36)                                        // 000000004980: BF8C8F74
	v_mfma_f32_16x16x32_fp8_fp8 v[184:187], a[112:113], v[224:225], v[184:187]// 000000004984: D3F300B8 0EE3C170
	v_mfma_f32_16x16x32_fp8_fp8 v[184:187], a[114:115], v[226:227], v[184:187]// 00000000498C: D3F300B8 0EE3C572
	buffer_load_dwordx4 a[240:243], v41, s[92:95], 0 offen     // 000000004994: E05C1000 8097F029
	v_mfma_f32_16x16x32_fp8_fp8 v[184:187], a[116:117], v[228:229], v[184:187]// 00000000499C: D3F300B8 0EE3C974
	v_mfma_f32_16x16x32_fp8_fp8 v[184:187], a[118:119], v[230:231], v[184:187]// 0000000049A4: D3F300B8 0EE3CD76
	v_mfma_f32_16x16x32_fp8_fp8 v[184:187], a[120:121], v[232:233], v[184:187]// 0000000049AC: D3F300B8 0EE3D178
	v_mfma_f32_16x16x32_fp8_fp8 v[184:187], a[122:123], v[234:235], v[184:187]// 0000000049B4: D3F300B8 0EE3D57A
	buffer_load_dwordx4 a[244:247], v41, s[92:95], 0 offen offset:1024// 0000000049BC: E05C1400 8097F429
	v_mfma_f32_16x16x32_fp8_fp8 v[184:187], a[124:125], v[236:237], v[184:187]// 0000000049C4: D3F300B8 0EE3D97C
	v_mfma_f32_16x16x32_fp8_fp8 v[184:187], a[126:127], v[238:239], v[184:187]// 0000000049CC: D3F300B8 0EE3DD7E
	v_mfma_f32_16x16x32_fp8_fp8 v[188:191], a[112:113], v[240:241], v[188:191]// 0000000049D4: D3F300BC 0EF3E170
	v_mfma_f32_16x16x32_fp8_fp8 v[188:191], a[114:115], v[242:243], v[188:191]// 0000000049DC: D3F300BC 0EF3E572
	buffer_load_dwordx4 a[248:251], v41, s[92:95], 0 offen offset:2048// 0000000049E4: E05C1800 8097F829
	v_mfma_f32_16x16x32_fp8_fp8 v[188:191], a[116:117], v[244:245], v[188:191]// 0000000049EC: D3F300BC 0EF3E974
	v_mfma_f32_16x16x32_fp8_fp8 v[188:191], a[118:119], v[246:247], v[188:191]// 0000000049F4: D3F300BC 0EF3ED76
	v_mfma_f32_16x16x32_fp8_fp8 v[188:191], a[120:121], v[248:249], v[188:191]// 0000000049FC: D3F300BC 0EF3F178
	v_mfma_f32_16x16x32_fp8_fp8 v[188:191], a[122:123], v[250:251], v[188:191]// 000000004A04: D3F300BC 0EF3F57A
	buffer_load_dwordx4 a[252:255], v41, s[92:95], 0 offen offset:3072// 000000004A0C: E05C1C00 8097FC29
	v_mfma_f32_16x16x32_fp8_fp8 v[188:191], a[124:125], v[252:253], v[188:191]// 000000004A14: D3F300BC 0EF3F97C
	v_mfma_f32_16x16x32_fp8_fp8 v[188:191], a[126:127], v[254:255], v[188:191]// 000000004A1C: D3F300BC 0EF3FD7E
	s_waitcnt vmcnt(24)                                        // 000000004A24: BF8C4F78
	s_barrier                                                  // 000000004A28: BF8A0000
	v_mfma_f32_16x16x32_fp8_fp8 v[64:67], a[128:129], v[224:225], v[64:67]// 000000004A2C: D3F30040 0D03C180
	v_mfma_f32_16x16x32_fp8_fp8 v[64:67], a[130:131], v[226:227], v[64:67]// 000000004A34: D3F30040 0D03C582
	buffer_load_dwordx4 a[0:3], v34, s[24:27], 0 offen         // 000000004A3C: E05C1000 80860022
	v_mfma_f32_16x16x32_fp8_fp8 v[64:67], a[132:133], v[228:229], v[64:67]// 000000004A44: D3F30040 0D03C984
	v_mfma_f32_16x16x32_fp8_fp8 v[64:67], a[134:135], v[230:231], v[64:67]// 000000004A4C: D3F30040 0D03CD86
	v_mfma_f32_16x16x32_fp8_fp8 v[64:67], a[136:137], v[232:233], v[64:67]// 000000004A54: D3F30040 0D03D188
	v_mfma_f32_16x16x32_fp8_fp8 v[64:67], a[138:139], v[234:235], v[64:67]// 000000004A5C: D3F30040 0D03D58A
	buffer_load_dwordx4 a[4:7], v34, s[24:27], 0 offen offset:1024// 000000004A64: E05C1400 80860422
	v_mfma_f32_16x16x32_fp8_fp8 v[64:67], a[140:141], v[236:237], v[64:67]// 000000004A6C: D3F30040 0D03D98C
	v_mfma_f32_16x16x32_fp8_fp8 v[64:67], a[142:143], v[238:239], v[64:67]// 000000004A74: D3F30040 0D03DD8E
	v_mfma_f32_16x16x32_fp8_fp8 v[68:71], a[128:129], v[240:241], v[68:71]// 000000004A7C: D3F30044 0D13E180
	v_mfma_f32_16x16x32_fp8_fp8 v[68:71], a[130:131], v[242:243], v[68:71]// 000000004A84: D3F30044 0D13E582
	buffer_load_dwordx4 a[8:11], v34, s[24:27], 0 offen offset:2048// 000000004A8C: E05C1800 80860822
	v_mfma_f32_16x16x32_fp8_fp8 v[68:71], a[132:133], v[244:245], v[68:71]// 000000004A94: D3F30044 0D13E984
	v_mfma_f32_16x16x32_fp8_fp8 v[68:71], a[134:135], v[246:247], v[68:71]// 000000004A9C: D3F30044 0D13ED86
	v_mfma_f32_16x16x32_fp8_fp8 v[68:71], a[136:137], v[248:249], v[68:71]// 000000004AA4: D3F30044 0D13F188
	v_mfma_f32_16x16x32_fp8_fp8 v[68:71], a[138:139], v[250:251], v[68:71]// 000000004AAC: D3F30044 0D13F58A
	buffer_load_dwordx4 a[12:15], v34, s[24:27], 0 offen offset:3072// 000000004AB4: E05C1C00 80860C22
	v_mfma_f32_16x16x32_fp8_fp8 v[68:71], a[140:141], v[252:253], v[68:71]// 000000004ABC: D3F30044 0D13F98C
	v_mfma_f32_16x16x32_fp8_fp8 v[68:71], a[142:143], v[254:255], v[68:71]// 000000004AC4: D3F30044 0D13FD8E
	v_mfma_f32_16x16x32_fp8_fp8 v[72:75], a[144:145], v[224:225], v[72:75]// 000000004ACC: D3F30048 0D23C190
	v_mfma_f32_16x16x32_fp8_fp8 v[72:75], a[146:147], v[226:227], v[72:75]// 000000004AD4: D3F30048 0D23C592
	buffer_load_dwordx4 a[16:19], v35, s[24:27], 0 offen       // 000000004ADC: E05C1000 80861023
	v_mfma_f32_16x16x32_fp8_fp8 v[72:75], a[148:149], v[228:229], v[72:75]// 000000004AE4: D3F30048 0D23C994
	v_mfma_f32_16x16x32_fp8_fp8 v[72:75], a[150:151], v[230:231], v[72:75]// 000000004AEC: D3F30048 0D23CD96
	v_mfma_f32_16x16x32_fp8_fp8 v[72:75], a[152:153], v[232:233], v[72:75]// 000000004AF4: D3F30048 0D23D198
	v_mfma_f32_16x16x32_fp8_fp8 v[72:75], a[154:155], v[234:235], v[72:75]// 000000004AFC: D3F30048 0D23D59A
	buffer_load_dwordx4 a[20:23], v35, s[24:27], 0 offen offset:1024// 000000004B04: E05C1400 80861423
	v_mfma_f32_16x16x32_fp8_fp8 v[72:75], a[156:157], v[236:237], v[72:75]// 000000004B0C: D3F30048 0D23D99C
	v_mfma_f32_16x16x32_fp8_fp8 v[72:75], a[158:159], v[238:239], v[72:75]// 000000004B14: D3F30048 0D23DD9E
	v_mfma_f32_16x16x32_fp8_fp8 v[76:79], a[144:145], v[240:241], v[76:79]// 000000004B1C: D3F3004C 0D33E190
	v_mfma_f32_16x16x32_fp8_fp8 v[76:79], a[146:147], v[242:243], v[76:79]// 000000004B24: D3F3004C 0D33E592
	buffer_load_dwordx4 a[24:27], v35, s[24:27], 0 offen offset:2048// 000000004B2C: E05C1800 80861823
	v_mfma_f32_16x16x32_fp8_fp8 v[76:79], a[148:149], v[244:245], v[76:79]// 000000004B34: D3F3004C 0D33E994
	v_mfma_f32_16x16x32_fp8_fp8 v[76:79], a[150:151], v[246:247], v[76:79]// 000000004B3C: D3F3004C 0D33ED96
	v_mfma_f32_16x16x32_fp8_fp8 v[76:79], a[152:153], v[248:249], v[76:79]// 000000004B44: D3F3004C 0D33F198
	v_mfma_f32_16x16x32_fp8_fp8 v[76:79], a[154:155], v[250:251], v[76:79]// 000000004B4C: D3F3004C 0D33F59A
	buffer_load_dwordx4 a[28:31], v35, s[24:27], 0 offen offset:3072// 000000004B54: E05C1C00 80861C23
	v_mfma_f32_16x16x32_fp8_fp8 v[76:79], a[156:157], v[252:253], v[76:79]// 000000004B5C: D3F3004C 0D33F99C
	v_mfma_f32_16x16x32_fp8_fp8 v[76:79], a[158:159], v[254:255], v[76:79]// 000000004B64: D3F3004C 0D33FD9E
	s_waitcnt vmcnt(28)                                        // 000000004B6C: BF8C4F7C
	v_mfma_f32_16x16x32_fp8_fp8 v[80:83], a[160:161], v[224:225], v[80:83]// 000000004B70: D3F30050 0D43C1A0
	v_mfma_f32_16x16x32_fp8_fp8 v[80:83], a[162:163], v[226:227], v[80:83]// 000000004B78: D3F30050 0D43C5A2
	buffer_load_dwordx4 a[32:35], v36, s[24:27], 0 offen       // 000000004B80: E05C1000 80862024
	v_mfma_f32_16x16x32_fp8_fp8 v[80:83], a[164:165], v[228:229], v[80:83]// 000000004B88: D3F30050 0D43C9A4
	v_mfma_f32_16x16x32_fp8_fp8 v[80:83], a[166:167], v[230:231], v[80:83]// 000000004B90: D3F30050 0D43CDA6
	ds_read_b128 v[192:195], v2                                // 000000004B98: D9FE0000 C0000002
	v_mfma_f32_16x16x32_fp8_fp8 v[80:83], a[168:169], v[232:233], v[80:83]// 000000004BA0: D3F30050 0D43D1A8
	v_mfma_f32_16x16x32_fp8_fp8 v[80:83], a[170:171], v[234:235], v[80:83]// 000000004BA8: D3F30050 0D43D5AA
	buffer_load_dwordx4 a[36:39], v36, s[24:27], 0 offen offset:1024// 000000004BB0: E05C1400 80862424
	v_mfma_f32_16x16x32_fp8_fp8 v[80:83], a[172:173], v[236:237], v[80:83]// 000000004BB8: D3F30050 0D43D9AC
	v_mfma_f32_16x16x32_fp8_fp8 v[80:83], a[174:175], v[238:239], v[80:83]// 000000004BC0: D3F30050 0D43DDAE
	ds_read_b128 v[196:199], v2 offset:64                      // 000000004BC8: D9FE0040 C4000002
	v_mfma_f32_16x16x32_fp8_fp8 v[84:87], a[160:161], v[240:241], v[84:87]// 000000004BD0: D3F30054 0D53E1A0
	v_mfma_f32_16x16x32_fp8_fp8 v[84:87], a[162:163], v[242:243], v[84:87]// 000000004BD8: D3F30054 0D53E5A2
	buffer_load_dwordx4 a[40:43], v36, s[24:27], 0 offen offset:2048// 000000004BE0: E05C1800 80862824
	v_mfma_f32_16x16x32_fp8_fp8 v[84:87], a[164:165], v[244:245], v[84:87]// 000000004BE8: D3F30054 0D53E9A4
	v_mfma_f32_16x16x32_fp8_fp8 v[84:87], a[166:167], v[246:247], v[84:87]// 000000004BF0: D3F30054 0D53EDA6
	ds_read_b128 v[200:203], v2 offset:128                     // 000000004BF8: D9FE0080 C8000002
	v_mfma_f32_16x16x32_fp8_fp8 v[84:87], a[168:169], v[248:249], v[84:87]// 000000004C00: D3F30054 0D53F1A8
	v_mfma_f32_16x16x32_fp8_fp8 v[84:87], a[170:171], v[250:251], v[84:87]// 000000004C08: D3F30054 0D53F5AA
	buffer_load_dwordx4 a[44:47], v36, s[24:27], 0 offen offset:3072// 000000004C10: E05C1C00 80862C24
	v_mfma_f32_16x16x32_fp8_fp8 v[84:87], a[172:173], v[252:253], v[84:87]// 000000004C18: D3F30054 0D53F9AC
	v_mfma_f32_16x16x32_fp8_fp8 v[84:87], a[174:175], v[254:255], v[84:87]// 000000004C20: D3F30054 0D53FDAE
	ds_read_b128 v[204:207], v2 offset:192                     // 000000004C28: D9FE00C0 CC000002
	s_waitcnt vmcnt(28)                                        // 000000004C30: BF8C4F7C
	v_mfma_f32_16x16x32_fp8_fp8 v[88:91], a[176:177], v[224:225], v[88:91]// 000000004C34: D3F30058 0D63C1B0
	v_mfma_f32_16x16x32_fp8_fp8 v[88:91], a[178:179], v[226:227], v[88:91]// 000000004C3C: D3F30058 0D63C5B2
	buffer_load_dwordx4 a[48:51], v37, s[24:27], 0 offen       // 000000004C44: E05C1000 80863025
	v_mfma_f32_16x16x32_fp8_fp8 v[88:91], a[180:181], v[228:229], v[88:91]// 000000004C4C: D3F30058 0D63C9B4
	v_mfma_f32_16x16x32_fp8_fp8 v[88:91], a[182:183], v[230:231], v[88:91]// 000000004C54: D3F30058 0D63CDB6
	ds_read_b128 v[208:211], v2 offset:1024                    // 000000004C5C: D9FE0400 D0000002
	v_mfma_f32_16x16x32_fp8_fp8 v[88:91], a[184:185], v[232:233], v[88:91]// 000000004C64: D3F30058 0D63D1B8
	v_mfma_f32_16x16x32_fp8_fp8 v[88:91], a[186:187], v[234:235], v[88:91]// 000000004C6C: D3F30058 0D63D5BA
	buffer_load_dwordx4 a[52:55], v37, s[24:27], 0 offen offset:1024// 000000004C74: E05C1400 80863425
	v_mfma_f32_16x16x32_fp8_fp8 v[88:91], a[188:189], v[236:237], v[88:91]// 000000004C7C: D3F30058 0D63D9BC
	v_mfma_f32_16x16x32_fp8_fp8 v[88:91], a[190:191], v[238:239], v[88:91]// 000000004C84: D3F30058 0D63DDBE
	ds_read_b128 v[212:215], v2 offset:1088                    // 000000004C8C: D9FE0440 D4000002
	v_mfma_f32_16x16x32_fp8_fp8 v[92:95], a[176:177], v[240:241], v[92:95]// 000000004C94: D3F3005C 0D73E1B0
	v_mfma_f32_16x16x32_fp8_fp8 v[92:95], a[178:179], v[242:243], v[92:95]// 000000004C9C: D3F3005C 0D73E5B2
	buffer_load_dwordx4 a[56:59], v37, s[24:27], 0 offen offset:2048// 000000004CA4: E05C1800 80863825
	v_mfma_f32_16x16x32_fp8_fp8 v[92:95], a[180:181], v[244:245], v[92:95]// 000000004CAC: D3F3005C 0D73E9B4
	v_mfma_f32_16x16x32_fp8_fp8 v[92:95], a[182:183], v[246:247], v[92:95]// 000000004CB4: D3F3005C 0D73EDB6
	ds_read_b128 v[216:219], v2 offset:1152                    // 000000004CBC: D9FE0480 D8000002
	v_mfma_f32_16x16x32_fp8_fp8 v[92:95], a[184:185], v[248:249], v[92:95]// 000000004CC4: D3F3005C 0D73F1B8
	v_mfma_f32_16x16x32_fp8_fp8 v[92:95], a[186:187], v[250:251], v[92:95]// 000000004CCC: D3F3005C 0D73F5BA
	buffer_load_dwordx4 a[60:63], v37, s[24:27], 0 offen offset:3072// 000000004CD4: E05C1C00 80863C25
	v_mfma_f32_16x16x32_fp8_fp8 v[92:95], a[188:189], v[252:253], v[92:95]// 000000004CDC: D3F3005C 0D73F9BC
	v_mfma_f32_16x16x32_fp8_fp8 v[92:95], a[190:191], v[254:255], v[92:95]// 000000004CE4: D3F3005C 0D73FDBE
	ds_read_b128 v[220:223], v2 offset:1216                    // 000000004CEC: D9FE04C0 DC000002
	s_waitcnt vmcnt(28)                                        // 000000004CF4: BF8C4F7C
	v_mfma_f32_16x16x32_fp8_fp8 v[96:99], a[192:193], v[224:225], v[96:99]// 000000004CF8: D3F30060 0D83C1C0
	v_mfma_f32_16x16x32_fp8_fp8 v[96:99], a[194:195], v[226:227], v[96:99]// 000000004D00: D3F30060 0D83C5C2
	buffer_load_dwordx4 a[64:67], v38, s[24:27], 0 offen       // 000000004D08: E05C1000 80864026
	v_mfma_f32_16x16x32_fp8_fp8 v[96:99], a[196:197], v[228:229], v[96:99]// 000000004D10: D3F30060 0D83C9C4
	v_mfma_f32_16x16x32_fp8_fp8 v[96:99], a[198:199], v[230:231], v[96:99]// 000000004D18: D3F30060 0D83CDC6
	v_mfma_f32_16x16x32_fp8_fp8 v[96:99], a[200:201], v[232:233], v[96:99]// 000000004D20: D3F30060 0D83D1C8
	v_mfma_f32_16x16x32_fp8_fp8 v[96:99], a[202:203], v[234:235], v[96:99]// 000000004D28: D3F30060 0D83D5CA
	buffer_load_dwordx4 a[68:71], v38, s[24:27], 0 offen offset:1024// 000000004D30: E05C1400 80864426
	v_mfma_f32_16x16x32_fp8_fp8 v[96:99], a[204:205], v[236:237], v[96:99]// 000000004D38: D3F30060 0D83D9CC
	v_mfma_f32_16x16x32_fp8_fp8 v[96:99], a[206:207], v[238:239], v[96:99]// 000000004D40: D3F30060 0D83DDCE
	v_mfma_f32_16x16x32_fp8_fp8 v[100:103], a[192:193], v[240:241], v[100:103]// 000000004D48: D3F30064 0D93E1C0
	v_mfma_f32_16x16x32_fp8_fp8 v[100:103], a[194:195], v[242:243], v[100:103]// 000000004D50: D3F30064 0D93E5C2
	buffer_load_dwordx4 a[72:75], v38, s[24:27], 0 offen offset:2048// 000000004D58: E05C1800 80864826
	v_mfma_f32_16x16x32_fp8_fp8 v[100:103], a[196:197], v[244:245], v[100:103]// 000000004D60: D3F30064 0D93E9C4
	v_mfma_f32_16x16x32_fp8_fp8 v[100:103], a[198:199], v[246:247], v[100:103]// 000000004D68: D3F30064 0D93EDC6
	v_mfma_f32_16x16x32_fp8_fp8 v[100:103], a[200:201], v[248:249], v[100:103]// 000000004D70: D3F30064 0D93F1C8
	v_mfma_f32_16x16x32_fp8_fp8 v[100:103], a[202:203], v[250:251], v[100:103]// 000000004D78: D3F30064 0D93F5CA
	buffer_load_dwordx4 a[76:79], v38, s[24:27], 0 offen offset:3072// 000000004D80: E05C1C00 80864C26
	v_mfma_f32_16x16x32_fp8_fp8 v[100:103], a[204:205], v[252:253], v[100:103]// 000000004D88: D3F30064 0D93F9CC
	v_mfma_f32_16x16x32_fp8_fp8 v[100:103], a[206:207], v[254:255], v[100:103]// 000000004D90: D3F30064 0D93FDCE
	s_waitcnt vmcnt(28)                                        // 000000004D98: BF8C4F7C
	v_mfma_f32_16x16x32_fp8_fp8 v[104:107], a[208:209], v[224:225], v[104:107]// 000000004D9C: D3F30068 0DA3C1D0
	v_mfma_f32_16x16x32_fp8_fp8 v[104:107], a[210:211], v[226:227], v[104:107]// 000000004DA4: D3F30068 0DA3C5D2
	buffer_load_dwordx4 a[80:83], v39, s[24:27], 0 offen       // 000000004DAC: E05C1000 80865027
	v_mfma_f32_16x16x32_fp8_fp8 v[104:107], a[212:213], v[228:229], v[104:107]// 000000004DB4: D3F30068 0DA3C9D4
	v_mfma_f32_16x16x32_fp8_fp8 v[104:107], a[214:215], v[230:231], v[104:107]// 000000004DBC: D3F30068 0DA3CDD6
	v_mfma_f32_16x16x32_fp8_fp8 v[104:107], a[216:217], v[232:233], v[104:107]// 000000004DC4: D3F30068 0DA3D1D8
	v_mfma_f32_16x16x32_fp8_fp8 v[104:107], a[218:219], v[234:235], v[104:107]// 000000004DCC: D3F30068 0DA3D5DA
	buffer_load_dwordx4 a[84:87], v39, s[24:27], 0 offen offset:1024// 000000004DD4: E05C1400 80865427
	v_mfma_f32_16x16x32_fp8_fp8 v[104:107], a[220:221], v[236:237], v[104:107]// 000000004DDC: D3F30068 0DA3D9DC
	v_mfma_f32_16x16x32_fp8_fp8 v[104:107], a[222:223], v[238:239], v[104:107]// 000000004DE4: D3F30068 0DA3DDDE
	v_mfma_f32_16x16x32_fp8_fp8 v[108:111], a[208:209], v[240:241], v[108:111]// 000000004DEC: D3F3006C 0DB3E1D0
	v_mfma_f32_16x16x32_fp8_fp8 v[108:111], a[210:211], v[242:243], v[108:111]// 000000004DF4: D3F3006C 0DB3E5D2
	buffer_load_dwordx4 a[88:91], v39, s[24:27], 0 offen offset:2048// 000000004DFC: E05C1800 80865827
	v_mfma_f32_16x16x32_fp8_fp8 v[108:111], a[212:213], v[244:245], v[108:111]// 000000004E04: D3F3006C 0DB3E9D4
	v_mfma_f32_16x16x32_fp8_fp8 v[108:111], a[214:215], v[246:247], v[108:111]// 000000004E0C: D3F3006C 0DB3EDD6
	v_mfma_f32_16x16x32_fp8_fp8 v[108:111], a[216:217], v[248:249], v[108:111]// 000000004E14: D3F3006C 0DB3F1D8
	v_mfma_f32_16x16x32_fp8_fp8 v[108:111], a[218:219], v[250:251], v[108:111]// 000000004E1C: D3F3006C 0DB3F5DA
	buffer_load_dwordx4 a[92:95], v39, s[24:27], 0 offen offset:3072// 000000004E24: E05C1C00 80865C27
	v_mfma_f32_16x16x32_fp8_fp8 v[108:111], a[220:221], v[252:253], v[108:111]// 000000004E2C: D3F3006C 0DB3F9DC
	v_mfma_f32_16x16x32_fp8_fp8 v[108:111], a[222:223], v[254:255], v[108:111]// 000000004E34: D3F3006C 0DB3FDDE
	s_waitcnt vmcnt(28)                                        // 000000004E3C: BF8C4F7C
	v_mfma_f32_16x16x32_fp8_fp8 v[112:115], a[224:225], v[224:225], v[112:115]// 000000004E40: D3F30070 0DC3C1E0
	v_mfma_f32_16x16x32_fp8_fp8 v[112:115], a[226:227], v[226:227], v[112:115]// 000000004E48: D3F30070 0DC3C5E2
	buffer_load_dwordx4 a[96:99], v40, s[24:27], 0 offen       // 000000004E50: E05C1000 80866028
	v_mfma_f32_16x16x32_fp8_fp8 v[112:115], a[228:229], v[228:229], v[112:115]// 000000004E58: D3F30070 0DC3C9E4
	v_mfma_f32_16x16x32_fp8_fp8 v[112:115], a[230:231], v[230:231], v[112:115]// 000000004E60: D3F30070 0DC3CDE6
	v_mfma_f32_16x16x32_fp8_fp8 v[112:115], a[232:233], v[232:233], v[112:115]// 000000004E68: D3F30070 0DC3D1E8
	v_mfma_f32_16x16x32_fp8_fp8 v[112:115], a[234:235], v[234:235], v[112:115]// 000000004E70: D3F30070 0DC3D5EA
	buffer_load_dwordx4 a[100:103], v40, s[24:27], 0 offen offset:1024// 000000004E78: E05C1400 80866428
	v_mfma_f32_16x16x32_fp8_fp8 v[112:115], a[236:237], v[236:237], v[112:115]// 000000004E80: D3F30070 0DC3D9EC
	v_mfma_f32_16x16x32_fp8_fp8 v[112:115], a[238:239], v[238:239], v[112:115]// 000000004E88: D3F30070 0DC3DDEE
	v_mfma_f32_16x16x32_fp8_fp8 v[116:119], a[224:225], v[240:241], v[116:119]// 000000004E90: D3F30074 0DD3E1E0
	v_mfma_f32_16x16x32_fp8_fp8 v[116:119], a[226:227], v[242:243], v[116:119]// 000000004E98: D3F30074 0DD3E5E2
	buffer_load_dwordx4 a[104:107], v40, s[24:27], 0 offen offset:2048// 000000004EA0: E05C1800 80866828
	v_mfma_f32_16x16x32_fp8_fp8 v[116:119], a[228:229], v[244:245], v[116:119]// 000000004EA8: D3F30074 0DD3E9E4
	v_mfma_f32_16x16x32_fp8_fp8 v[116:119], a[230:231], v[246:247], v[116:119]// 000000004EB0: D3F30074 0DD3EDE6
	v_mfma_f32_16x16x32_fp8_fp8 v[116:119], a[232:233], v[248:249], v[116:119]// 000000004EB8: D3F30074 0DD3F1E8
	v_mfma_f32_16x16x32_fp8_fp8 v[116:119], a[234:235], v[250:251], v[116:119]// 000000004EC0: D3F30074 0DD3F5EA
	buffer_load_dwordx4 a[108:111], v40, s[24:27], 0 offen offset:3072// 000000004EC8: E05C1C00 80866C28
	v_mfma_f32_16x16x32_fp8_fp8 v[116:119], a[236:237], v[252:253], v[116:119]// 000000004ED0: D3F30074 0DD3F9EC
	v_mfma_f32_16x16x32_fp8_fp8 v[116:119], a[238:239], v[254:255], v[116:119]// 000000004ED8: D3F30074 0DD3FDEE
	s_waitcnt vmcnt(28)                                        // 000000004EE0: BF8C4F7C
	v_mfma_f32_16x16x32_fp8_fp8 v[120:123], a[240:241], v[224:225], v[120:123]// 000000004EE4: D3F30078 0DE3C1F0
	v_mfma_f32_16x16x32_fp8_fp8 v[120:123], a[242:243], v[226:227], v[120:123]// 000000004EEC: D3F30078 0DE3C5F2
	buffer_load_dwordx4 a[112:115], v41, s[24:27], 0 offen     // 000000004EF4: E05C1000 80867029
	v_mfma_f32_16x16x32_fp8_fp8 v[120:123], a[244:245], v[228:229], v[120:123]// 000000004EFC: D3F30078 0DE3C9F4
	v_mfma_f32_16x16x32_fp8_fp8 v[120:123], a[246:247], v[230:231], v[120:123]// 000000004F04: D3F30078 0DE3CDF6
	v_mfma_f32_16x16x32_fp8_fp8 v[120:123], a[248:249], v[232:233], v[120:123]// 000000004F0C: D3F30078 0DE3D1F8
	v_mfma_f32_16x16x32_fp8_fp8 v[120:123], a[250:251], v[234:235], v[120:123]// 000000004F14: D3F30078 0DE3D5FA
	buffer_load_dwordx4 a[116:119], v41, s[24:27], 0 offen offset:1024// 000000004F1C: E05C1400 80867429
	v_mfma_f32_16x16x32_fp8_fp8 v[120:123], a[252:253], v[236:237], v[120:123]// 000000004F24: D3F30078 0DE3D9FC
	v_mfma_f32_16x16x32_fp8_fp8 v[120:123], a[254:255], v[238:239], v[120:123]// 000000004F2C: D3F30078 0DE3DDFE
	v_mfma_f32_16x16x32_fp8_fp8 v[124:127], a[240:241], v[240:241], v[124:127]// 000000004F34: D3F3007C 0DF3E1F0
	v_mfma_f32_16x16x32_fp8_fp8 v[124:127], a[242:243], v[242:243], v[124:127]// 000000004F3C: D3F3007C 0DF3E5F2
	buffer_load_dwordx4 a[120:123], v41, s[24:27], 0 offen offset:2048// 000000004F44: E05C1800 80867829
	v_mfma_f32_16x16x32_fp8_fp8 v[124:127], a[244:245], v[244:245], v[124:127]// 000000004F4C: D3F3007C 0DF3E9F4
	v_mfma_f32_16x16x32_fp8_fp8 v[124:127], a[246:247], v[246:247], v[124:127]// 000000004F54: D3F3007C 0DF3EDF6
	v_mfma_f32_16x16x32_fp8_fp8 v[124:127], a[248:249], v[248:249], v[124:127]// 000000004F5C: D3F3007C 0DF3F1F8
	v_mfma_f32_16x16x32_fp8_fp8 v[124:127], a[250:251], v[250:251], v[124:127]// 000000004F64: D3F3007C 0DF3F5FA
	buffer_load_dwordx4 a[124:127], v41, s[24:27], 0 offen offset:3072// 000000004F6C: E05C1C00 80867C29
	v_mfma_f32_16x16x32_fp8_fp8 v[124:127], a[252:253], v[252:253], v[124:127]// 000000004F74: D3F3007C 0DF3F9FC
	v_mfma_f32_16x16x32_fp8_fp8 v[124:127], a[254:255], v[254:255], v[124:127]// 000000004F7C: D3F3007C 0DF3FDFE
	s_add_u32 s60, 0x200, s80                                  // 000000004F84: 803C50FF 00000200
	s_cmp_lt_u32 s60, s81                                      // 000000004F8C: BF0A513C
	s_cselect_b32 s57, s57, 0                                  // 000000004F90: 85398039
	s_add_u32 s60, 0x200, s80                                  // 000000004F94: 803C50FF 00000200
	s_cmp_lt_u32 s60, s81                                      // 000000004F9C: BF0A513C
	s_cselect_b32 s58, s58, 0                                  // 000000004FA0: 853A803A
	s_add_u32 s20, s57, s20                                    // 000000004FA4: 80141439
	s_addc_u32 s21, 0, s21                                     // 000000004FA8: 82151580
	s_add_u32 s24, s58, s24                                    // 000000004FAC: 8018183A
	s_addc_u32 s25, 0, s25                                     // 000000004FB0: 82191980
	s_add_u32 s92, s90, s92                                    // 000000004FB4: 805C5C5A
	s_addc_u32 s93, 0, s93                                     // 000000004FB8: 825D5D80
	s_addk_i32 s80, 0x100                                      // 000000004FBC: B7500100
	s_cmp_lt_i32 s80, s81                                      // 000000004FC0: BF045150
	s_cbranch_scc0 label_0873                                  // 000000004FC4: BF840001
	s_branch label_02D2                                        // 000000004FC8: BF82FA5F

0000000000004fcc <label_0873>:
	s_mov_b32 s36, -1                                          // 000000004FCC: BEA400C1
	s_mov_b32 s37, -1                                          // 000000004FD0: BEA500C1
	s_mov_b64 s[60:61], 0                                      // 000000004FD4: BEBC0180
	s_cmp_lt_u32 s82, s66                                      // 000000004FD8: BF0A4252
	s_cselect_b64 s[20:21], s[36:37], s[60:61]                 // 000000004FDC: 85943C24
	s_cmp_lt_u32 s83, s66                                      // 000000004FE0: BF0A4253
	s_cselect_b64 s[22:23], s[36:37], s[60:61]                 // 000000004FE4: 85963C24
	s_cmp_lt_u32 s84, s66                                      // 000000004FE8: BF0A4254
	s_cselect_b64 s[24:25], s[36:37], s[60:61]                 // 000000004FEC: 85983C24
	s_cmp_lt_u32 s85, s66                                      // 000000004FF0: BF0A4255
	s_cselect_b64 s[26:27], s[36:37], s[60:61]                 // 000000004FF4: 859A3C24
	s_cmp_lt_u32 s86, s66                                      // 000000004FF8: BF0A4256
	s_cselect_b64 s[28:29], s[36:37], s[60:61]                 // 000000004FFC: 859C3C24
	s_cmp_lt_u32 s87, s66                                      // 000000005000: BF0A4257
	s_cselect_b64 s[30:31], s[36:37], s[60:61]                 // 000000005004: 859E3C24
	s_cmp_lt_u32 s88, s66                                      // 000000005008: BF0A4258
	s_cselect_b64 s[32:33], s[36:37], s[60:61]                 // 00000000500C: 85A03C24
	s_cmp_lt_u32 s89, s66                                      // 000000005010: BF0A4259
	s_cselect_b64 s[34:35], s[36:37], s[60:61]                 // 000000005014: 85A23C24
	v_mul_f32_e32 v128, v14, v128                              // 000000005018: 0B01010E
	v_mul_f32_e32 v129, v14, v129                              // 00000000501C: 0B03030E
	v_mul_f32_e32 v130, v14, v130                              // 000000005020: 0B05050E
	v_mul_f32_e32 v131, v14, v131                              // 000000005024: 0B07070E
	v_mul_f32_dpp v128, v16, v128 row_newbcast:0 row_mask:0xf bank_mask:0xf// 000000005028: 0B0100FA FF015010
	v_mul_f32_dpp v129, v16, v129 row_newbcast:1 row_mask:0xf bank_mask:0xf// 000000005030: 0B0302FA FF015110
	v_mul_f32_dpp v130, v16, v130 row_newbcast:2 row_mask:0xf bank_mask:0xf// 000000005038: 0B0504FA FF015210
	v_mul_f32_dpp v131, v16, v131 row_newbcast:3 row_mask:0xf bank_mask:0xf// 000000005040: 0B0706FA FF015310
	v_mul_f32_e32 v132, v15, v132                              // 000000005048: 0B09090F
	v_mul_f32_e32 v133, v15, v133                              // 00000000504C: 0B0B0B0F
	v_mul_f32_e32 v134, v15, v134                              // 000000005050: 0B0D0D0F
	v_mul_f32_e32 v135, v15, v135                              // 000000005054: 0B0F0F0F
	v_mul_f32_dpp v132, v16, v132 row_newbcast:0 row_mask:0xf bank_mask:0xf// 000000005058: 0B0908FA FF015010
	v_mul_f32_dpp v133, v16, v133 row_newbcast:1 row_mask:0xf bank_mask:0xf// 000000005060: 0B0B0AFA FF015110
	v_mul_f32_dpp v134, v16, v134 row_newbcast:2 row_mask:0xf bank_mask:0xf// 000000005068: 0B0D0CFA FF015210
	v_mul_f32_dpp v135, v16, v135 row_newbcast:3 row_mask:0xf bank_mask:0xf// 000000005070: 0B0F0EFA FF015310
	v_mul_f32_e32 v136, v14, v136                              // 000000005078: 0B11110E
	v_mul_f32_e32 v137, v14, v137                              // 00000000507C: 0B13130E
	v_mul_f32_e32 v138, v14, v138                              // 000000005080: 0B15150E
	v_mul_f32_e32 v139, v14, v139                              // 000000005084: 0B17170E
	v_mul_f32_dpp v136, v16, v136 row_newbcast:4 row_mask:0xf bank_mask:0xf// 000000005088: 0B1110FA FF015410
	v_mul_f32_dpp v137, v16, v137 row_newbcast:5 row_mask:0xf bank_mask:0xf// 000000005090: 0B1312FA FF015510
	v_mul_f32_dpp v138, v16, v138 row_newbcast:6 row_mask:0xf bank_mask:0xf// 000000005098: 0B1514FA FF015610
	v_mul_f32_dpp v139, v16, v139 row_newbcast:7 row_mask:0xf bank_mask:0xf// 0000000050A0: 0B1716FA FF015710
	v_mul_f32_e32 v140, v15, v140                              // 0000000050A8: 0B19190F
	v_mul_f32_e32 v141, v15, v141                              // 0000000050AC: 0B1B1B0F
	v_mul_f32_e32 v142, v15, v142                              // 0000000050B0: 0B1D1D0F
	v_mul_f32_e32 v143, v15, v143                              // 0000000050B4: 0B1F1F0F
	v_mul_f32_dpp v140, v16, v140 row_newbcast:4 row_mask:0xf bank_mask:0xf// 0000000050B8: 0B1918FA FF015410
	v_mul_f32_dpp v141, v16, v141 row_newbcast:5 row_mask:0xf bank_mask:0xf// 0000000050C0: 0B1B1AFA FF015510
	v_mul_f32_dpp v142, v16, v142 row_newbcast:6 row_mask:0xf bank_mask:0xf// 0000000050C8: 0B1D1CFA FF015610
	v_mul_f32_dpp v143, v16, v143 row_newbcast:7 row_mask:0xf bank_mask:0xf// 0000000050D0: 0B1F1EFA FF015710
	v_mul_f32_e32 v144, v14, v144                              // 0000000050D8: 0B21210E
	v_mul_f32_e32 v145, v14, v145                              // 0000000050DC: 0B23230E
	v_mul_f32_e32 v146, v14, v146                              // 0000000050E0: 0B25250E
	v_mul_f32_e32 v147, v14, v147                              // 0000000050E4: 0B27270E
	v_mul_f32_dpp v144, v16, v144 row_newbcast:8 row_mask:0xf bank_mask:0xf// 0000000050E8: 0B2120FA FF015810
	v_mul_f32_dpp v145, v16, v145 row_newbcast:9 row_mask:0xf bank_mask:0xf// 0000000050F0: 0B2322FA FF015910
	v_mul_f32_dpp v146, v16, v146 row_newbcast:10 row_mask:0xf bank_mask:0xf// 0000000050F8: 0B2524FA FF015A10
	v_mul_f32_dpp v147, v16, v147 row_newbcast:11 row_mask:0xf bank_mask:0xf// 000000005100: 0B2726FA FF015B10
	v_mul_f32_e32 v148, v15, v148                              // 000000005108: 0B29290F
	v_mul_f32_e32 v149, v15, v149                              // 00000000510C: 0B2B2B0F
	v_mul_f32_e32 v150, v15, v150                              // 000000005110: 0B2D2D0F
	v_mul_f32_e32 v151, v15, v151                              // 000000005114: 0B2F2F0F
	v_mul_f32_dpp v148, v16, v148 row_newbcast:8 row_mask:0xf bank_mask:0xf// 000000005118: 0B2928FA FF015810
	v_mul_f32_dpp v149, v16, v149 row_newbcast:9 row_mask:0xf bank_mask:0xf// 000000005120: 0B2B2AFA FF015910
	v_mul_f32_dpp v150, v16, v150 row_newbcast:10 row_mask:0xf bank_mask:0xf// 000000005128: 0B2D2CFA FF015A10
	v_mul_f32_dpp v151, v16, v151 row_newbcast:11 row_mask:0xf bank_mask:0xf// 000000005130: 0B2F2EFA FF015B10
	v_mul_f32_e32 v152, v14, v152                              // 000000005138: 0B31310E
	v_mul_f32_e32 v153, v14, v153                              // 00000000513C: 0B33330E
	v_mul_f32_e32 v154, v14, v154                              // 000000005140: 0B35350E
	v_mul_f32_e32 v155, v14, v155                              // 000000005144: 0B37370E
	v_mul_f32_dpp v152, v16, v152 row_newbcast:12 row_mask:0xf bank_mask:0xf// 000000005148: 0B3130FA FF015C10
	v_mul_f32_dpp v153, v16, v153 row_newbcast:13 row_mask:0xf bank_mask:0xf// 000000005150: 0B3332FA FF015D10
	v_mul_f32_dpp v154, v16, v154 row_newbcast:14 row_mask:0xf bank_mask:0xf// 000000005158: 0B3534FA FF015E10
	v_mul_f32_dpp v155, v16, v155 row_newbcast:15 row_mask:0xf bank_mask:0xf// 000000005160: 0B3736FA FF015F10
	v_mul_f32_e32 v156, v15, v156                              // 000000005168: 0B39390F
	v_mul_f32_e32 v157, v15, v157                              // 00000000516C: 0B3B3B0F
	v_mul_f32_e32 v158, v15, v158                              // 000000005170: 0B3D3D0F
	v_mul_f32_e32 v159, v15, v159                              // 000000005174: 0B3F3F0F
	v_mul_f32_dpp v156, v16, v156 row_newbcast:12 row_mask:0xf bank_mask:0xf// 000000005178: 0B3938FA FF015C10
	v_mul_f32_dpp v157, v16, v157 row_newbcast:13 row_mask:0xf bank_mask:0xf// 000000005180: 0B3B3AFA FF015D10
	v_mul_f32_dpp v158, v16, v158 row_newbcast:14 row_mask:0xf bank_mask:0xf// 000000005188: 0B3D3CFA FF015E10
	v_mul_f32_dpp v159, v16, v159 row_newbcast:15 row_mask:0xf bank_mask:0xf// 000000005190: 0B3F3EFA FF015F10
	v_mul_f32_e32 v160, v14, v160                              // 000000005198: 0B41410E
	v_mul_f32_e32 v161, v14, v161                              // 00000000519C: 0B43430E
	v_mul_f32_e32 v162, v14, v162                              // 0000000051A0: 0B45450E
	v_mul_f32_e32 v163, v14, v163                              // 0000000051A4: 0B47470E
	v_mul_f32_dpp v160, v17, v160 row_newbcast:0 row_mask:0xf bank_mask:0xf// 0000000051A8: 0B4140FA FF015011
	v_mul_f32_dpp v161, v17, v161 row_newbcast:1 row_mask:0xf bank_mask:0xf// 0000000051B0: 0B4342FA FF015111
	v_mul_f32_dpp v162, v17, v162 row_newbcast:2 row_mask:0xf bank_mask:0xf// 0000000051B8: 0B4544FA FF015211
	v_mul_f32_dpp v163, v17, v163 row_newbcast:3 row_mask:0xf bank_mask:0xf// 0000000051C0: 0B4746FA FF015311
	v_mul_f32_e32 v164, v15, v164                              // 0000000051C8: 0B49490F
	v_mul_f32_e32 v165, v15, v165                              // 0000000051CC: 0B4B4B0F
	v_mul_f32_e32 v166, v15, v166                              // 0000000051D0: 0B4D4D0F
	v_mul_f32_e32 v167, v15, v167                              // 0000000051D4: 0B4F4F0F
	v_mul_f32_dpp v164, v17, v164 row_newbcast:0 row_mask:0xf bank_mask:0xf// 0000000051D8: 0B4948FA FF015011
	v_mul_f32_dpp v165, v17, v165 row_newbcast:1 row_mask:0xf bank_mask:0xf// 0000000051E0: 0B4B4AFA FF015111
	v_mul_f32_dpp v166, v17, v166 row_newbcast:2 row_mask:0xf bank_mask:0xf// 0000000051E8: 0B4D4CFA FF015211
	v_mul_f32_dpp v167, v17, v167 row_newbcast:3 row_mask:0xf bank_mask:0xf// 0000000051F0: 0B4F4EFA FF015311
	v_mul_f32_e32 v168, v14, v168                              // 0000000051F8: 0B51510E
	v_mul_f32_e32 v169, v14, v169                              // 0000000051FC: 0B53530E
	v_mul_f32_e32 v170, v14, v170                              // 000000005200: 0B55550E
	v_mul_f32_e32 v171, v14, v171                              // 000000005204: 0B57570E
	v_mul_f32_dpp v168, v17, v168 row_newbcast:4 row_mask:0xf bank_mask:0xf// 000000005208: 0B5150FA FF015411
	v_mul_f32_dpp v169, v17, v169 row_newbcast:5 row_mask:0xf bank_mask:0xf// 000000005210: 0B5352FA FF015511
	v_mul_f32_dpp v170, v17, v170 row_newbcast:6 row_mask:0xf bank_mask:0xf// 000000005218: 0B5554FA FF015611
	v_mul_f32_dpp v171, v17, v171 row_newbcast:7 row_mask:0xf bank_mask:0xf// 000000005220: 0B5756FA FF015711
	v_mul_f32_e32 v172, v15, v172                              // 000000005228: 0B59590F
	v_mul_f32_e32 v173, v15, v173                              // 00000000522C: 0B5B5B0F
	v_mul_f32_e32 v174, v15, v174                              // 000000005230: 0B5D5D0F
	v_mul_f32_e32 v175, v15, v175                              // 000000005234: 0B5F5F0F
	v_mul_f32_dpp v172, v17, v172 row_newbcast:4 row_mask:0xf bank_mask:0xf// 000000005238: 0B5958FA FF015411
	v_mul_f32_dpp v173, v17, v173 row_newbcast:5 row_mask:0xf bank_mask:0xf// 000000005240: 0B5B5AFA FF015511
	v_mul_f32_dpp v174, v17, v174 row_newbcast:6 row_mask:0xf bank_mask:0xf// 000000005248: 0B5D5CFA FF015611
	v_mul_f32_dpp v175, v17, v175 row_newbcast:7 row_mask:0xf bank_mask:0xf// 000000005250: 0B5F5EFA FF015711
	v_mul_f32_e32 v176, v14, v176                              // 000000005258: 0B61610E
	v_mul_f32_e32 v177, v14, v177                              // 00000000525C: 0B63630E
	v_mul_f32_e32 v178, v14, v178                              // 000000005260: 0B65650E
	v_mul_f32_e32 v179, v14, v179                              // 000000005264: 0B67670E
	v_mul_f32_dpp v176, v17, v176 row_newbcast:8 row_mask:0xf bank_mask:0xf// 000000005268: 0B6160FA FF015811
	v_mul_f32_dpp v177, v17, v177 row_newbcast:9 row_mask:0xf bank_mask:0xf// 000000005270: 0B6362FA FF015911
	v_mul_f32_dpp v178, v17, v178 row_newbcast:10 row_mask:0xf bank_mask:0xf// 000000005278: 0B6564FA FF015A11
	v_mul_f32_dpp v179, v17, v179 row_newbcast:11 row_mask:0xf bank_mask:0xf// 000000005280: 0B6766FA FF015B11
	v_mul_f32_e32 v180, v15, v180                              // 000000005288: 0B69690F
	v_mul_f32_e32 v181, v15, v181                              // 00000000528C: 0B6B6B0F
	v_mul_f32_e32 v182, v15, v182                              // 000000005290: 0B6D6D0F
	v_mul_f32_e32 v183, v15, v183                              // 000000005294: 0B6F6F0F
	v_mul_f32_dpp v180, v17, v180 row_newbcast:8 row_mask:0xf bank_mask:0xf// 000000005298: 0B6968FA FF015811
	v_mul_f32_dpp v181, v17, v181 row_newbcast:9 row_mask:0xf bank_mask:0xf// 0000000052A0: 0B6B6AFA FF015911
	v_mul_f32_dpp v182, v17, v182 row_newbcast:10 row_mask:0xf bank_mask:0xf// 0000000052A8: 0B6D6CFA FF015A11
	v_mul_f32_dpp v183, v17, v183 row_newbcast:11 row_mask:0xf bank_mask:0xf// 0000000052B0: 0B6F6EFA FF015B11
	v_mul_f32_e32 v184, v14, v184                              // 0000000052B8: 0B71710E
	v_mul_f32_e32 v185, v14, v185                              // 0000000052BC: 0B73730E
	v_mul_f32_e32 v186, v14, v186                              // 0000000052C0: 0B75750E
	v_mul_f32_e32 v187, v14, v187                              // 0000000052C4: 0B77770E
	v_mul_f32_dpp v184, v17, v184 row_newbcast:12 row_mask:0xf bank_mask:0xf// 0000000052C8: 0B7170FA FF015C11
	v_mul_f32_dpp v185, v17, v185 row_newbcast:13 row_mask:0xf bank_mask:0xf// 0000000052D0: 0B7372FA FF015D11
	v_mul_f32_dpp v186, v17, v186 row_newbcast:14 row_mask:0xf bank_mask:0xf// 0000000052D8: 0B7574FA FF015E11
	v_mul_f32_dpp v187, v17, v187 row_newbcast:15 row_mask:0xf bank_mask:0xf// 0000000052E0: 0B7776FA FF015F11
	v_mul_f32_e32 v188, v15, v188                              // 0000000052E8: 0B79790F
	v_mul_f32_e32 v189, v15, v189                              // 0000000052EC: 0B7B7B0F
	v_mul_f32_e32 v190, v15, v190                              // 0000000052F0: 0B7D7D0F
	v_mul_f32_e32 v191, v15, v191                              // 0000000052F4: 0B7F7F0F
	v_mul_f32_dpp v188, v17, v188 row_newbcast:12 row_mask:0xf bank_mask:0xf// 0000000052F8: 0B7978FA FF015C11
	v_mul_f32_dpp v189, v17, v189 row_newbcast:13 row_mask:0xf bank_mask:0xf// 000000005300: 0B7B7AFA FF015D11
	v_mul_f32_dpp v190, v17, v190 row_newbcast:14 row_mask:0xf bank_mask:0xf// 000000005308: 0B7D7CFA FF015E11
	v_mul_f32_dpp v191, v17, v191 row_newbcast:15 row_mask:0xf bank_mask:0xf// 000000005310: 0B7F7EFA FF015F11
	v_mul_f32_e32 v64, v14, v64                                // 000000005318: 0A80810E
	v_mul_f32_e32 v65, v14, v65                                // 00000000531C: 0A82830E
	v_mul_f32_e32 v66, v14, v66                                // 000000005320: 0A84850E
	v_mul_f32_e32 v67, v14, v67                                // 000000005324: 0A86870E
	v_mul_f32_dpp v64, v50, v64 row_newbcast:0 row_mask:0xf bank_mask:0xf// 000000005328: 0A8080FA FF015032
	v_mul_f32_dpp v65, v50, v65 row_newbcast:1 row_mask:0xf bank_mask:0xf// 000000005330: 0A8282FA FF015132
	v_mul_f32_dpp v66, v50, v66 row_newbcast:2 row_mask:0xf bank_mask:0xf// 000000005338: 0A8484FA FF015232
	v_mul_f32_dpp v67, v50, v67 row_newbcast:3 row_mask:0xf bank_mask:0xf// 000000005340: 0A8686FA FF015332
	v_mul_f32_e32 v68, v15, v68                                // 000000005348: 0A88890F
	v_mul_f32_e32 v69, v15, v69                                // 00000000534C: 0A8A8B0F
	v_mul_f32_e32 v70, v15, v70                                // 000000005350: 0A8C8D0F
	v_mul_f32_e32 v71, v15, v71                                // 000000005354: 0A8E8F0F
	v_mul_f32_dpp v68, v50, v68 row_newbcast:0 row_mask:0xf bank_mask:0xf// 000000005358: 0A8888FA FF015032
	v_mul_f32_dpp v69, v50, v69 row_newbcast:1 row_mask:0xf bank_mask:0xf// 000000005360: 0A8A8AFA FF015132
	v_mul_f32_dpp v70, v50, v70 row_newbcast:2 row_mask:0xf bank_mask:0xf// 000000005368: 0A8C8CFA FF015232
	v_mul_f32_dpp v71, v50, v71 row_newbcast:3 row_mask:0xf bank_mask:0xf// 000000005370: 0A8E8EFA FF015332
	v_mul_f32_e32 v72, v14, v72                                // 000000005378: 0A90910E
	v_mul_f32_e32 v73, v14, v73                                // 00000000537C: 0A92930E
	v_mul_f32_e32 v74, v14, v74                                // 000000005380: 0A94950E
	v_mul_f32_e32 v75, v14, v75                                // 000000005384: 0A96970E
	v_mul_f32_dpp v72, v50, v72 row_newbcast:4 row_mask:0xf bank_mask:0xf// 000000005388: 0A9090FA FF015432
	v_mul_f32_dpp v73, v50, v73 row_newbcast:5 row_mask:0xf bank_mask:0xf// 000000005390: 0A9292FA FF015532
	v_mul_f32_dpp v74, v50, v74 row_newbcast:6 row_mask:0xf bank_mask:0xf// 000000005398: 0A9494FA FF015632
	v_mul_f32_dpp v75, v50, v75 row_newbcast:7 row_mask:0xf bank_mask:0xf// 0000000053A0: 0A9696FA FF015732
	v_mul_f32_e32 v76, v15, v76                                // 0000000053A8: 0A98990F
	v_mul_f32_e32 v77, v15, v77                                // 0000000053AC: 0A9A9B0F
	v_mul_f32_e32 v78, v15, v78                                // 0000000053B0: 0A9C9D0F
	v_mul_f32_e32 v79, v15, v79                                // 0000000053B4: 0A9E9F0F
	v_mul_f32_dpp v76, v50, v76 row_newbcast:4 row_mask:0xf bank_mask:0xf// 0000000053B8: 0A9898FA FF015432
	v_mul_f32_dpp v77, v50, v77 row_newbcast:5 row_mask:0xf bank_mask:0xf// 0000000053C0: 0A9A9AFA FF015532
	v_mul_f32_dpp v78, v50, v78 row_newbcast:6 row_mask:0xf bank_mask:0xf// 0000000053C8: 0A9C9CFA FF015632
	v_mul_f32_dpp v79, v50, v79 row_newbcast:7 row_mask:0xf bank_mask:0xf// 0000000053D0: 0A9E9EFA FF015732
	v_mul_f32_e32 v80, v14, v80                                // 0000000053D8: 0AA0A10E
	v_mul_f32_e32 v81, v14, v81                                // 0000000053DC: 0AA2A30E
	v_mul_f32_e32 v82, v14, v82                                // 0000000053E0: 0AA4A50E
	v_mul_f32_e32 v83, v14, v83                                // 0000000053E4: 0AA6A70E
	v_mul_f32_dpp v80, v50, v80 row_newbcast:8 row_mask:0xf bank_mask:0xf// 0000000053E8: 0AA0A0FA FF015832
	v_mul_f32_dpp v81, v50, v81 row_newbcast:9 row_mask:0xf bank_mask:0xf// 0000000053F0: 0AA2A2FA FF015932
	v_mul_f32_dpp v82, v50, v82 row_newbcast:10 row_mask:0xf bank_mask:0xf// 0000000053F8: 0AA4A4FA FF015A32
	v_mul_f32_dpp v83, v50, v83 row_newbcast:11 row_mask:0xf bank_mask:0xf// 000000005400: 0AA6A6FA FF015B32
	v_mul_f32_e32 v84, v15, v84                                // 000000005408: 0AA8A90F
	v_mul_f32_e32 v85, v15, v85                                // 00000000540C: 0AAAAB0F
	v_mul_f32_e32 v86, v15, v86                                // 000000005410: 0AACAD0F
	v_mul_f32_e32 v87, v15, v87                                // 000000005414: 0AAEAF0F
	v_mul_f32_dpp v84, v50, v84 row_newbcast:8 row_mask:0xf bank_mask:0xf// 000000005418: 0AA8A8FA FF015832
	v_mul_f32_dpp v85, v50, v85 row_newbcast:9 row_mask:0xf bank_mask:0xf// 000000005420: 0AAAAAFA FF015932
	v_mul_f32_dpp v86, v50, v86 row_newbcast:10 row_mask:0xf bank_mask:0xf// 000000005428: 0AACACFA FF015A32
	v_mul_f32_dpp v87, v50, v87 row_newbcast:11 row_mask:0xf bank_mask:0xf// 000000005430: 0AAEAEFA FF015B32
	v_mul_f32_e32 v88, v14, v88                                // 000000005438: 0AB0B10E
	v_mul_f32_e32 v89, v14, v89                                // 00000000543C: 0AB2B30E
	v_mul_f32_e32 v90, v14, v90                                // 000000005440: 0AB4B50E
	v_mul_f32_e32 v91, v14, v91                                // 000000005444: 0AB6B70E
	v_mul_f32_dpp v88, v50, v88 row_newbcast:12 row_mask:0xf bank_mask:0xf// 000000005448: 0AB0B0FA FF015C32
	v_mul_f32_dpp v89, v50, v89 row_newbcast:13 row_mask:0xf bank_mask:0xf// 000000005450: 0AB2B2FA FF015D32
	v_mul_f32_dpp v90, v50, v90 row_newbcast:14 row_mask:0xf bank_mask:0xf// 000000005458: 0AB4B4FA FF015E32
	v_mul_f32_dpp v91, v50, v91 row_newbcast:15 row_mask:0xf bank_mask:0xf// 000000005460: 0AB6B6FA FF015F32
	v_mul_f32_e32 v92, v15, v92                                // 000000005468: 0AB8B90F
	v_mul_f32_e32 v93, v15, v93                                // 00000000546C: 0ABABB0F
	v_mul_f32_e32 v94, v15, v94                                // 000000005470: 0ABCBD0F
	v_mul_f32_e32 v95, v15, v95                                // 000000005474: 0ABEBF0F
	v_mul_f32_dpp v92, v50, v92 row_newbcast:12 row_mask:0xf bank_mask:0xf// 000000005478: 0AB8B8FA FF015C32
	v_mul_f32_dpp v93, v50, v93 row_newbcast:13 row_mask:0xf bank_mask:0xf// 000000005480: 0ABABAFA FF015D32
	v_mul_f32_dpp v94, v50, v94 row_newbcast:14 row_mask:0xf bank_mask:0xf// 000000005488: 0ABCBCFA FF015E32
	v_mul_f32_dpp v95, v50, v95 row_newbcast:15 row_mask:0xf bank_mask:0xf// 000000005490: 0ABEBEFA FF015F32
	v_mul_f32_e32 v96, v14, v96                                // 000000005498: 0AC0C10E
	v_mul_f32_e32 v97, v14, v97                                // 00000000549C: 0AC2C30E
	v_mul_f32_e32 v98, v14, v98                                // 0000000054A0: 0AC4C50E
	v_mul_f32_e32 v99, v14, v99                                // 0000000054A4: 0AC6C70E
	v_mul_f32_dpp v96, v51, v96 row_newbcast:0 row_mask:0xf bank_mask:0xf// 0000000054A8: 0AC0C0FA FF015033
	v_mul_f32_dpp v97, v51, v97 row_newbcast:1 row_mask:0xf bank_mask:0xf// 0000000054B0: 0AC2C2FA FF015133
	v_mul_f32_dpp v98, v51, v98 row_newbcast:2 row_mask:0xf bank_mask:0xf// 0000000054B8: 0AC4C4FA FF015233
	v_mul_f32_dpp v99, v51, v99 row_newbcast:3 row_mask:0xf bank_mask:0xf// 0000000054C0: 0AC6C6FA FF015333
	v_mul_f32_e32 v100, v15, v100                              // 0000000054C8: 0AC8C90F
	v_mul_f32_e32 v101, v15, v101                              // 0000000054CC: 0ACACB0F
	v_mul_f32_e32 v102, v15, v102                              // 0000000054D0: 0ACCCD0F
	v_mul_f32_e32 v103, v15, v103                              // 0000000054D4: 0ACECF0F
	v_mul_f32_dpp v100, v51, v100 row_newbcast:0 row_mask:0xf bank_mask:0xf// 0000000054D8: 0AC8C8FA FF015033
	v_mul_f32_dpp v101, v51, v101 row_newbcast:1 row_mask:0xf bank_mask:0xf// 0000000054E0: 0ACACAFA FF015133
	v_mul_f32_dpp v102, v51, v102 row_newbcast:2 row_mask:0xf bank_mask:0xf// 0000000054E8: 0ACCCCFA FF015233
	v_mul_f32_dpp v103, v51, v103 row_newbcast:3 row_mask:0xf bank_mask:0xf// 0000000054F0: 0ACECEFA FF015333
	v_mul_f32_e32 v104, v14, v104                              // 0000000054F8: 0AD0D10E
	v_mul_f32_e32 v105, v14, v105                              // 0000000054FC: 0AD2D30E
	v_mul_f32_e32 v106, v14, v106                              // 000000005500: 0AD4D50E
	v_mul_f32_e32 v107, v14, v107                              // 000000005504: 0AD6D70E
	v_mul_f32_dpp v104, v51, v104 row_newbcast:4 row_mask:0xf bank_mask:0xf// 000000005508: 0AD0D0FA FF015433
	v_mul_f32_dpp v105, v51, v105 row_newbcast:5 row_mask:0xf bank_mask:0xf// 000000005510: 0AD2D2FA FF015533
	v_mul_f32_dpp v106, v51, v106 row_newbcast:6 row_mask:0xf bank_mask:0xf// 000000005518: 0AD4D4FA FF015633
	v_mul_f32_dpp v107, v51, v107 row_newbcast:7 row_mask:0xf bank_mask:0xf// 000000005520: 0AD6D6FA FF015733
	v_mul_f32_e32 v108, v15, v108                              // 000000005528: 0AD8D90F
	v_mul_f32_e32 v109, v15, v109                              // 00000000552C: 0ADADB0F
	v_mul_f32_e32 v110, v15, v110                              // 000000005530: 0ADCDD0F
	v_mul_f32_e32 v111, v15, v111                              // 000000005534: 0ADEDF0F
	v_mul_f32_dpp v108, v51, v108 row_newbcast:4 row_mask:0xf bank_mask:0xf// 000000005538: 0AD8D8FA FF015433
	v_mul_f32_dpp v109, v51, v109 row_newbcast:5 row_mask:0xf bank_mask:0xf// 000000005540: 0ADADAFA FF015533
	v_mul_f32_dpp v110, v51, v110 row_newbcast:6 row_mask:0xf bank_mask:0xf// 000000005548: 0ADCDCFA FF015633
	v_mul_f32_dpp v111, v51, v111 row_newbcast:7 row_mask:0xf bank_mask:0xf// 000000005550: 0ADEDEFA FF015733
	v_mul_f32_e32 v112, v14, v112                              // 000000005558: 0AE0E10E
	v_mul_f32_e32 v113, v14, v113                              // 00000000555C: 0AE2E30E
	v_mul_f32_e32 v114, v14, v114                              // 000000005560: 0AE4E50E
	v_mul_f32_e32 v115, v14, v115                              // 000000005564: 0AE6E70E
	v_mul_f32_dpp v112, v51, v112 row_newbcast:8 row_mask:0xf bank_mask:0xf// 000000005568: 0AE0E0FA FF015833
	v_mul_f32_dpp v113, v51, v113 row_newbcast:9 row_mask:0xf bank_mask:0xf// 000000005570: 0AE2E2FA FF015933
	v_mul_f32_dpp v114, v51, v114 row_newbcast:10 row_mask:0xf bank_mask:0xf// 000000005578: 0AE4E4FA FF015A33
	v_mul_f32_dpp v115, v51, v115 row_newbcast:11 row_mask:0xf bank_mask:0xf// 000000005580: 0AE6E6FA FF015B33
	v_mul_f32_e32 v116, v15, v116                              // 000000005588: 0AE8E90F
	v_mul_f32_e32 v117, v15, v117                              // 00000000558C: 0AEAEB0F
	v_mul_f32_e32 v118, v15, v118                              // 000000005590: 0AECED0F
	v_mul_f32_e32 v119, v15, v119                              // 000000005594: 0AEEEF0F
	v_mul_f32_dpp v116, v51, v116 row_newbcast:8 row_mask:0xf bank_mask:0xf// 000000005598: 0AE8E8FA FF015833
	v_mul_f32_dpp v117, v51, v117 row_newbcast:9 row_mask:0xf bank_mask:0xf// 0000000055A0: 0AEAEAFA FF015933
	v_mul_f32_dpp v118, v51, v118 row_newbcast:10 row_mask:0xf bank_mask:0xf// 0000000055A8: 0AECECFA FF015A33
	v_mul_f32_dpp v119, v51, v119 row_newbcast:11 row_mask:0xf bank_mask:0xf// 0000000055B0: 0AEEEEFA FF015B33
	v_mul_f32_e32 v120, v14, v120                              // 0000000055B8: 0AF0F10E
	v_mul_f32_e32 v121, v14, v121                              // 0000000055BC: 0AF2F30E
	v_mul_f32_e32 v122, v14, v122                              // 0000000055C0: 0AF4F50E
	v_mul_f32_e32 v123, v14, v123                              // 0000000055C4: 0AF6F70E
	v_mul_f32_dpp v120, v51, v120 row_newbcast:12 row_mask:0xf bank_mask:0xf// 0000000055C8: 0AF0F0FA FF015C33
	v_mul_f32_dpp v121, v51, v121 row_newbcast:13 row_mask:0xf bank_mask:0xf// 0000000055D0: 0AF2F2FA FF015D33
	v_mul_f32_dpp v122, v51, v122 row_newbcast:14 row_mask:0xf bank_mask:0xf// 0000000055D8: 0AF4F4FA FF015E33
	v_mul_f32_dpp v123, v51, v123 row_newbcast:15 row_mask:0xf bank_mask:0xf// 0000000055E0: 0AF6F6FA FF015F33
	v_mul_f32_e32 v124, v15, v124                              // 0000000055E8: 0AF8F90F
	v_mul_f32_e32 v125, v15, v125                              // 0000000055EC: 0AFAFB0F
	v_mul_f32_e32 v126, v15, v126                              // 0000000055F0: 0AFCFD0F
	v_mul_f32_e32 v127, v15, v127                              // 0000000055F4: 0AFEFF0F
	v_mul_f32_dpp v124, v51, v124 row_newbcast:12 row_mask:0xf bank_mask:0xf// 0000000055F8: 0AF8F8FA FF015C33
	v_mul_f32_dpp v125, v51, v125 row_newbcast:13 row_mask:0xf bank_mask:0xf// 000000005600: 0AFAFAFA FF015D33
	v_mul_f32_dpp v126, v51, v126 row_newbcast:14 row_mask:0xf bank_mask:0xf// 000000005608: 0AFCFCFA FF015E33
	v_mul_f32_dpp v127, v51, v127 row_newbcast:15 row_mask:0xf bank_mask:0xf// 000000005610: 0AFEFEFA FF015F33
	s_waitcnt vmcnt(28)                                        // 000000005618: BF8C4F7C
	buffer_load_dwordx4 a[0:3], v42, s[12:15], 0 offen         // 00000000561C: E05C1000 8083002A
	v_mul_f32_e32 v52, v128, v128                              // 000000005624: 0A690180
	v_mul_f32_e32 v53, v129, v129                              // 000000005628: 0A6B0381
	v_mul_f32_e32 v54, v130, v130                              // 00000000562C: 0A6D0582
	v_mul_f32_e32 v55, v131, v131                              // 000000005630: 0A6F0783
	v_fma_f32 v52, v52, s77, v1                                // 000000005634: D1CB0034 04049B34
	v_fma_f32 v53, v53, s77, v1                                // 00000000563C: D1CB0035 04049B35
	v_fma_f32 v54, v54, s77, v1                                // 000000005644: D1CB0036 04049B36
	v_fma_f32 v55, v55, s77, v1                                // 00000000564C: D1CB0037 04049B37
	v_mul_f32_e32 v52, v52, v128                               // 000000005654: 0A690134
	v_mul_f32_e32 v53, v53, v129                               // 000000005658: 0A6B0335
	v_mul_f32_e32 v54, v54, v130                               // 00000000565C: 0A6D0536
	v_mul_f32_e32 v55, v55, v131                               // 000000005660: 0A6F0737
	v_mul_f32_e64 v52, v52, s6                                 // 000000005664: D1050034 00000D34
	v_mul_f32_e64 v53, v53, s6                                 // 00000000566C: D1050035 00000D35
	v_mul_f32_e64 v54, v54, s6                                 // 000000005674: D1050036 00000D36
	v_mul_f32_e64 v55, v55, s6                                 // 00000000567C: D1050037 00000D37
	v_exp_f32_e32 v52, v52                                     // 000000005684: 7E684134
	v_exp_f32_e32 v53, v53                                     // 000000005688: 7E6A4135
	v_exp_f32_e32 v54, v54                                     // 00000000568C: 7E6C4136
	v_exp_f32_e32 v55, v55                                     // 000000005690: 7E6E4137
	buffer_load_dwordx4 a[4:7], v43, s[12:15], 0 offen         // 000000005694: E05C1000 8083042B
	v_add_f32_e64 v52, v52, 1.0                                // 00000000569C: D1010034 0001E534
	v_add_f32_e64 v53, v53, 1.0                                // 0000000056A4: D1010035 0001E535
	v_add_f32_e64 v54, v54, 1.0                                // 0000000056AC: D1010036 0001E536
	v_add_f32_e64 v55, v55, 1.0                                // 0000000056B4: D1010037 0001E537
	v_rcp_f32_e32 v52, v52                                     // 0000000056BC: 7E684534
	v_rcp_f32_e32 v53, v53                                     // 0000000056C0: 7E6A4535
	v_rcp_f32_e32 v54, v54                                     // 0000000056C4: 7E6C4536
	v_rcp_f32_e32 v55, v55                                     // 0000000056C8: 7E6E4537
	v_mul_f32_e32 v128, v128, v52                              // 0000000056CC: 0B006980
	v_mul_f32_e32 v129, v129, v53                              // 0000000056D0: 0B026B81
	v_mul_f32_e32 v130, v130, v54                              // 0000000056D4: 0B046D82
	v_mul_f32_e32 v131, v131, v55                              // 0000000056D8: 0B066F83
	v_mul_f32_e32 v128, v128, v64                              // 0000000056DC: 0B008180
	v_mul_f32_e32 v129, v129, v65                              // 0000000056E0: 0B028381
	v_mul_f32_e32 v130, v130, v66                              // 0000000056E4: 0B048582
	v_mul_f32_e32 v131, v131, v67                              // 0000000056E8: 0B068783
	buffer_load_dwordx4 a[8:11], v44, s[12:15], 0 offen        // 0000000056EC: E05C1000 8083082C
	v_mul_f32_e32 v52, v132, v132                              // 0000000056F4: 0A690984
	v_mul_f32_e32 v53, v133, v133                              // 0000000056F8: 0A6B0B85
	v_mul_f32_e32 v54, v134, v134                              // 0000000056FC: 0A6D0D86
	v_mul_f32_e32 v55, v135, v135                              // 000000005700: 0A6F0F87
	v_fma_f32 v52, v52, s77, v1                                // 000000005704: D1CB0034 04049B34
	v_fma_f32 v53, v53, s77, v1                                // 00000000570C: D1CB0035 04049B35
	v_fma_f32 v54, v54, s77, v1                                // 000000005714: D1CB0036 04049B36
	v_fma_f32 v55, v55, s77, v1                                // 00000000571C: D1CB0037 04049B37
	v_mul_f32_e32 v52, v52, v132                               // 000000005724: 0A690934
	v_mul_f32_e32 v53, v53, v133                               // 000000005728: 0A6B0B35
	v_mul_f32_e32 v54, v54, v134                               // 00000000572C: 0A6D0D36
	v_mul_f32_e32 v55, v55, v135                               // 000000005730: 0A6F0F37
	v_mul_f32_e64 v52, v52, s6                                 // 000000005734: D1050034 00000D34
	v_mul_f32_e64 v53, v53, s6                                 // 00000000573C: D1050035 00000D35
	v_mul_f32_e64 v54, v54, s6                                 // 000000005744: D1050036 00000D36
	v_mul_f32_e64 v55, v55, s6                                 // 00000000574C: D1050037 00000D37
	v_exp_f32_e32 v52, v52                                     // 000000005754: 7E684134
	v_exp_f32_e32 v53, v53                                     // 000000005758: 7E6A4135
	v_exp_f32_e32 v54, v54                                     // 00000000575C: 7E6C4136
	v_exp_f32_e32 v55, v55                                     // 000000005760: 7E6E4137
	buffer_load_dwordx4 a[12:15], v45, s[12:15], 0 offen       // 000000005764: E05C1000 80830C2D
	s_add_u32 s12, s78, s12                                    // 00000000576C: 800C0C4E
	s_addc_u32 s13, 0, s13                                     // 000000005770: 820D0D80
	v_add_f32_e64 v52, v52, 1.0                                // 000000005774: D1010034 0001E534
	v_add_f32_e64 v53, v53, 1.0                                // 00000000577C: D1010035 0001E535
	v_add_f32_e64 v54, v54, 1.0                                // 000000005784: D1010036 0001E536
	v_add_f32_e64 v55, v55, 1.0                                // 00000000578C: D1010037 0001E537
	v_rcp_f32_e32 v52, v52                                     // 000000005794: 7E684534
	v_rcp_f32_e32 v53, v53                                     // 000000005798: 7E6A4535
	v_rcp_f32_e32 v54, v54                                     // 00000000579C: 7E6C4536
	v_rcp_f32_e32 v55, v55                                     // 0000000057A0: 7E6E4537
	v_mul_f32_e32 v132, v132, v52                              // 0000000057A4: 0B086984
	v_mul_f32_e32 v133, v133, v53                              // 0000000057A8: 0B0A6B85
	v_mul_f32_e32 v134, v134, v54                              // 0000000057AC: 0B0C6D86
	v_mul_f32_e32 v135, v135, v55                              // 0000000057B0: 0B0E6F87
	v_mul_f32_e32 v132, v132, v68                              // 0000000057B4: 0B088984
	v_mul_f32_e32 v133, v133, v69                              // 0000000057B8: 0B0A8B85
	v_mul_f32_e32 v134, v134, v70                              // 0000000057BC: 0B0C8D86
	v_mul_f32_e32 v135, v135, v71                              // 0000000057C0: 0B0E8F87
	s_waitcnt vmcnt(28)                                        // 0000000057C4: BF8C4F7C
	buffer_load_dwordx4 a[16:19], v42, s[12:15], 0 offen       // 0000000057C8: E05C1000 8083102A
	v_mul_f32_e32 v52, v136, v136                              // 0000000057D0: 0A691188
	v_mul_f32_e32 v53, v137, v137                              // 0000000057D4: 0A6B1389
	v_mul_f32_e32 v54, v138, v138                              // 0000000057D8: 0A6D158A
	v_mul_f32_e32 v55, v139, v139                              // 0000000057DC: 0A6F178B
	v_fma_f32 v52, v52, s77, v1                                // 0000000057E0: D1CB0034 04049B34
	v_fma_f32 v53, v53, s77, v1                                // 0000000057E8: D1CB0035 04049B35
	v_fma_f32 v54, v54, s77, v1                                // 0000000057F0: D1CB0036 04049B36
	v_fma_f32 v55, v55, s77, v1                                // 0000000057F8: D1CB0037 04049B37
	v_mul_f32_e32 v52, v52, v136                               // 000000005800: 0A691134
	v_mul_f32_e32 v53, v53, v137                               // 000000005804: 0A6B1335
	v_mul_f32_e32 v54, v54, v138                               // 000000005808: 0A6D1536
	v_mul_f32_e32 v55, v55, v139                               // 00000000580C: 0A6F1737
	v_mul_f32_e64 v52, v52, s6                                 // 000000005810: D1050034 00000D34
	v_mul_f32_e64 v53, v53, s6                                 // 000000005818: D1050035 00000D35
	v_mul_f32_e64 v54, v54, s6                                 // 000000005820: D1050036 00000D36
	v_mul_f32_e64 v55, v55, s6                                 // 000000005828: D1050037 00000D37
	v_exp_f32_e32 v52, v52                                     // 000000005830: 7E684134
	v_exp_f32_e32 v53, v53                                     // 000000005834: 7E6A4135
	v_exp_f32_e32 v54, v54                                     // 000000005838: 7E6C4136
	v_exp_f32_e32 v55, v55                                     // 00000000583C: 7E6E4137
	buffer_load_dwordx4 a[20:23], v43, s[12:15], 0 offen       // 000000005840: E05C1000 8083142B
	v_add_f32_e64 v52, v52, 1.0                                // 000000005848: D1010034 0001E534
	v_add_f32_e64 v53, v53, 1.0                                // 000000005850: D1010035 0001E535
	v_add_f32_e64 v54, v54, 1.0                                // 000000005858: D1010036 0001E536
	v_add_f32_e64 v55, v55, 1.0                                // 000000005860: D1010037 0001E537
	v_rcp_f32_e32 v52, v52                                     // 000000005868: 7E684534
	v_rcp_f32_e32 v53, v53                                     // 00000000586C: 7E6A4535
	v_rcp_f32_e32 v54, v54                                     // 000000005870: 7E6C4536
	v_rcp_f32_e32 v55, v55                                     // 000000005874: 7E6E4537
	v_mul_f32_e32 v136, v136, v52                              // 000000005878: 0B106988
	v_mul_f32_e32 v137, v137, v53                              // 00000000587C: 0B126B89
	v_mul_f32_e32 v138, v138, v54                              // 000000005880: 0B146D8A
	v_mul_f32_e32 v139, v139, v55                              // 000000005884: 0B166F8B
	v_mul_f32_e32 v136, v136, v72                              // 000000005888: 0B109188
	v_mul_f32_e32 v137, v137, v73                              // 00000000588C: 0B129389
	v_mul_f32_e32 v138, v138, v74                              // 000000005890: 0B14958A
	v_mul_f32_e32 v139, v139, v75                              // 000000005894: 0B16978B
	buffer_load_dwordx4 a[24:27], v44, s[12:15], 0 offen       // 000000005898: E05C1000 8083182C
	v_mul_f32_e32 v52, v140, v140                              // 0000000058A0: 0A69198C
	v_mul_f32_e32 v53, v141, v141                              // 0000000058A4: 0A6B1B8D
	v_mul_f32_e32 v54, v142, v142                              // 0000000058A8: 0A6D1D8E
	v_mul_f32_e32 v55, v143, v143                              // 0000000058AC: 0A6F1F8F
	v_fma_f32 v52, v52, s77, v1                                // 0000000058B0: D1CB0034 04049B34
	v_fma_f32 v53, v53, s77, v1                                // 0000000058B8: D1CB0035 04049B35
	v_fma_f32 v54, v54, s77, v1                                // 0000000058C0: D1CB0036 04049B36
	v_fma_f32 v55, v55, s77, v1                                // 0000000058C8: D1CB0037 04049B37
	v_mul_f32_e32 v52, v52, v140                               // 0000000058D0: 0A691934
	v_mul_f32_e32 v53, v53, v141                               // 0000000058D4: 0A6B1B35
	v_mul_f32_e32 v54, v54, v142                               // 0000000058D8: 0A6D1D36
	v_mul_f32_e32 v55, v55, v143                               // 0000000058DC: 0A6F1F37
	v_mul_f32_e64 v52, v52, s6                                 // 0000000058E0: D1050034 00000D34
	v_mul_f32_e64 v53, v53, s6                                 // 0000000058E8: D1050035 00000D35
	v_mul_f32_e64 v54, v54, s6                                 // 0000000058F0: D1050036 00000D36
	v_mul_f32_e64 v55, v55, s6                                 // 0000000058F8: D1050037 00000D37
	v_exp_f32_e32 v52, v52                                     // 000000005900: 7E684134
	v_exp_f32_e32 v53, v53                                     // 000000005904: 7E6A4135
	v_exp_f32_e32 v54, v54                                     // 000000005908: 7E6C4136
	v_exp_f32_e32 v55, v55                                     // 00000000590C: 7E6E4137
	buffer_load_dwordx4 a[28:31], v45, s[12:15], 0 offen       // 000000005910: E05C1000 80831C2D
	s_add_u32 s12, s78, s12                                    // 000000005918: 800C0C4E
	s_addc_u32 s13, 0, s13                                     // 00000000591C: 820D0D80
	v_add_f32_e64 v52, v52, 1.0                                // 000000005920: D1010034 0001E534
	v_add_f32_e64 v53, v53, 1.0                                // 000000005928: D1010035 0001E535
	v_add_f32_e64 v54, v54, 1.0                                // 000000005930: D1010036 0001E536
	v_add_f32_e64 v55, v55, 1.0                                // 000000005938: D1010037 0001E537
	v_rcp_f32_e32 v52, v52                                     // 000000005940: 7E684534
	v_rcp_f32_e32 v53, v53                                     // 000000005944: 7E6A4535
	v_rcp_f32_e32 v54, v54                                     // 000000005948: 7E6C4536
	v_rcp_f32_e32 v55, v55                                     // 00000000594C: 7E6E4537
	v_mul_f32_e32 v140, v140, v52                              // 000000005950: 0B18698C
	v_mul_f32_e32 v141, v141, v53                              // 000000005954: 0B1A6B8D
	v_mul_f32_e32 v142, v142, v54                              // 000000005958: 0B1C6D8E
	v_mul_f32_e32 v143, v143, v55                              // 00000000595C: 0B1E6F8F
	v_mul_f32_e32 v140, v140, v76                              // 000000005960: 0B18998C
	v_mul_f32_e32 v141, v141, v77                              // 000000005964: 0B1A9B8D
	v_mul_f32_e32 v142, v142, v78                              // 000000005968: 0B1C9D8E
	v_mul_f32_e32 v143, v143, v79                              // 00000000596C: 0B1E9F8F
	s_waitcnt vmcnt(28)                                        // 000000005970: BF8C4F7C
	buffer_load_dwordx4 a[32:35], v42, s[12:15], 0 offen       // 000000005974: E05C1000 8083202A
	v_mul_f32_e32 v52, v144, v144                              // 00000000597C: 0A692190
	v_mul_f32_e32 v53, v145, v145                              // 000000005980: 0A6B2391
	v_mul_f32_e32 v54, v146, v146                              // 000000005984: 0A6D2592
	v_mul_f32_e32 v55, v147, v147                              // 000000005988: 0A6F2793
	v_fma_f32 v52, v52, s77, v1                                // 00000000598C: D1CB0034 04049B34
	v_fma_f32 v53, v53, s77, v1                                // 000000005994: D1CB0035 04049B35
	v_fma_f32 v54, v54, s77, v1                                // 00000000599C: D1CB0036 04049B36
	v_fma_f32 v55, v55, s77, v1                                // 0000000059A4: D1CB0037 04049B37
	v_mul_f32_e32 v52, v52, v144                               // 0000000059AC: 0A692134
	v_mul_f32_e32 v53, v53, v145                               // 0000000059B0: 0A6B2335
	v_mul_f32_e32 v54, v54, v146                               // 0000000059B4: 0A6D2536
	v_mul_f32_e32 v55, v55, v147                               // 0000000059B8: 0A6F2737
	v_mul_f32_e64 v52, v52, s6                                 // 0000000059BC: D1050034 00000D34
	v_mul_f32_e64 v53, v53, s6                                 // 0000000059C4: D1050035 00000D35
	v_mul_f32_e64 v54, v54, s6                                 // 0000000059CC: D1050036 00000D36
	v_mul_f32_e64 v55, v55, s6                                 // 0000000059D4: D1050037 00000D37
	v_exp_f32_e32 v52, v52                                     // 0000000059DC: 7E684134
	v_exp_f32_e32 v53, v53                                     // 0000000059E0: 7E6A4135
	v_exp_f32_e32 v54, v54                                     // 0000000059E4: 7E6C4136
	v_exp_f32_e32 v55, v55                                     // 0000000059E8: 7E6E4137
	buffer_load_dwordx4 a[36:39], v43, s[12:15], 0 offen       // 0000000059EC: E05C1000 8083242B
	v_add_f32_e64 v52, v52, 1.0                                // 0000000059F4: D1010034 0001E534
	v_add_f32_e64 v53, v53, 1.0                                // 0000000059FC: D1010035 0001E535
	v_add_f32_e64 v54, v54, 1.0                                // 000000005A04: D1010036 0001E536
	v_add_f32_e64 v55, v55, 1.0                                // 000000005A0C: D1010037 0001E537
	v_rcp_f32_e32 v52, v52                                     // 000000005A14: 7E684534
	v_rcp_f32_e32 v53, v53                                     // 000000005A18: 7E6A4535
	v_rcp_f32_e32 v54, v54                                     // 000000005A1C: 7E6C4536
	v_rcp_f32_e32 v55, v55                                     // 000000005A20: 7E6E4537
	v_mul_f32_e32 v144, v144, v52                              // 000000005A24: 0B206990
	v_mul_f32_e32 v145, v145, v53                              // 000000005A28: 0B226B91
	v_mul_f32_e32 v146, v146, v54                              // 000000005A2C: 0B246D92
	v_mul_f32_e32 v147, v147, v55                              // 000000005A30: 0B266F93
	v_mul_f32_e32 v144, v144, v80                              // 000000005A34: 0B20A190
	v_mul_f32_e32 v145, v145, v81                              // 000000005A38: 0B22A391
	v_mul_f32_e32 v146, v146, v82                              // 000000005A3C: 0B24A592
	v_mul_f32_e32 v147, v147, v83                              // 000000005A40: 0B26A793
	buffer_load_dwordx4 a[40:43], v44, s[12:15], 0 offen       // 000000005A44: E05C1000 8083282C
	v_mul_f32_e32 v52, v148, v148                              // 000000005A4C: 0A692994
	v_mul_f32_e32 v53, v149, v149                              // 000000005A50: 0A6B2B95
	v_mul_f32_e32 v54, v150, v150                              // 000000005A54: 0A6D2D96
	v_mul_f32_e32 v55, v151, v151                              // 000000005A58: 0A6F2F97
	v_fma_f32 v52, v52, s77, v1                                // 000000005A5C: D1CB0034 04049B34
	v_fma_f32 v53, v53, s77, v1                                // 000000005A64: D1CB0035 04049B35
	v_fma_f32 v54, v54, s77, v1                                // 000000005A6C: D1CB0036 04049B36
	v_fma_f32 v55, v55, s77, v1                                // 000000005A74: D1CB0037 04049B37
	v_mul_f32_e32 v52, v52, v148                               // 000000005A7C: 0A692934
	v_mul_f32_e32 v53, v53, v149                               // 000000005A80: 0A6B2B35
	v_mul_f32_e32 v54, v54, v150                               // 000000005A84: 0A6D2D36
	v_mul_f32_e32 v55, v55, v151                               // 000000005A88: 0A6F2F37
	v_mul_f32_e64 v52, v52, s6                                 // 000000005A8C: D1050034 00000D34
	v_mul_f32_e64 v53, v53, s6                                 // 000000005A94: D1050035 00000D35
	v_mul_f32_e64 v54, v54, s6                                 // 000000005A9C: D1050036 00000D36
	v_mul_f32_e64 v55, v55, s6                                 // 000000005AA4: D1050037 00000D37
	v_exp_f32_e32 v52, v52                                     // 000000005AAC: 7E684134
	v_exp_f32_e32 v53, v53                                     // 000000005AB0: 7E6A4135
	v_exp_f32_e32 v54, v54                                     // 000000005AB4: 7E6C4136
	v_exp_f32_e32 v55, v55                                     // 000000005AB8: 7E6E4137
	buffer_load_dwordx4 a[44:47], v45, s[12:15], 0 offen       // 000000005ABC: E05C1000 80832C2D
	s_add_u32 s12, s78, s12                                    // 000000005AC4: 800C0C4E
	s_addc_u32 s13, 0, s13                                     // 000000005AC8: 820D0D80
	v_add_f32_e64 v52, v52, 1.0                                // 000000005ACC: D1010034 0001E534
	v_add_f32_e64 v53, v53, 1.0                                // 000000005AD4: D1010035 0001E535
	v_add_f32_e64 v54, v54, 1.0                                // 000000005ADC: D1010036 0001E536
	v_add_f32_e64 v55, v55, 1.0                                // 000000005AE4: D1010037 0001E537
	v_rcp_f32_e32 v52, v52                                     // 000000005AEC: 7E684534
	v_rcp_f32_e32 v53, v53                                     // 000000005AF0: 7E6A4535
	v_rcp_f32_e32 v54, v54                                     // 000000005AF4: 7E6C4536
	v_rcp_f32_e32 v55, v55                                     // 000000005AF8: 7E6E4537
	v_mul_f32_e32 v148, v148, v52                              // 000000005AFC: 0B286994
	v_mul_f32_e32 v149, v149, v53                              // 000000005B00: 0B2A6B95
	v_mul_f32_e32 v150, v150, v54                              // 000000005B04: 0B2C6D96
	v_mul_f32_e32 v151, v151, v55                              // 000000005B08: 0B2E6F97
	v_mul_f32_e32 v148, v148, v84                              // 000000005B0C: 0B28A994
	v_mul_f32_e32 v149, v149, v85                              // 000000005B10: 0B2AAB95
	v_mul_f32_e32 v150, v150, v86                              // 000000005B14: 0B2CAD96
	v_mul_f32_e32 v151, v151, v87                              // 000000005B18: 0B2EAF97
	s_waitcnt vmcnt(28)                                        // 000000005B1C: BF8C4F7C
	buffer_load_dwordx4 a[48:51], v42, s[12:15], 0 offen       // 000000005B20: E05C1000 8083302A
	v_mul_f32_e32 v52, v152, v152                              // 000000005B28: 0A693198
	v_mul_f32_e32 v53, v153, v153                              // 000000005B2C: 0A6B3399
	v_mul_f32_e32 v54, v154, v154                              // 000000005B30: 0A6D359A
	v_mul_f32_e32 v55, v155, v155                              // 000000005B34: 0A6F379B
	v_fma_f32 v52, v52, s77, v1                                // 000000005B38: D1CB0034 04049B34
	v_fma_f32 v53, v53, s77, v1                                // 000000005B40: D1CB0035 04049B35
	v_fma_f32 v54, v54, s77, v1                                // 000000005B48: D1CB0036 04049B36
	v_fma_f32 v55, v55, s77, v1                                // 000000005B50: D1CB0037 04049B37
	v_mul_f32_e32 v52, v52, v152                               // 000000005B58: 0A693134
	v_mul_f32_e32 v53, v53, v153                               // 000000005B5C: 0A6B3335
	v_mul_f32_e32 v54, v54, v154                               // 000000005B60: 0A6D3536
	v_mul_f32_e32 v55, v55, v155                               // 000000005B64: 0A6F3737
	v_mul_f32_e64 v52, v52, s6                                 // 000000005B68: D1050034 00000D34
	v_mul_f32_e64 v53, v53, s6                                 // 000000005B70: D1050035 00000D35
	v_mul_f32_e64 v54, v54, s6                                 // 000000005B78: D1050036 00000D36
	v_mul_f32_e64 v55, v55, s6                                 // 000000005B80: D1050037 00000D37
	v_exp_f32_e32 v52, v52                                     // 000000005B88: 7E684134
	v_exp_f32_e32 v53, v53                                     // 000000005B8C: 7E6A4135
	v_exp_f32_e32 v54, v54                                     // 000000005B90: 7E6C4136
	v_exp_f32_e32 v55, v55                                     // 000000005B94: 7E6E4137
	buffer_load_dwordx4 a[52:55], v43, s[12:15], 0 offen       // 000000005B98: E05C1000 8083342B
	v_add_f32_e64 v52, v52, 1.0                                // 000000005BA0: D1010034 0001E534
	v_add_f32_e64 v53, v53, 1.0                                // 000000005BA8: D1010035 0001E535
	v_add_f32_e64 v54, v54, 1.0                                // 000000005BB0: D1010036 0001E536
	v_add_f32_e64 v55, v55, 1.0                                // 000000005BB8: D1010037 0001E537
	v_rcp_f32_e32 v52, v52                                     // 000000005BC0: 7E684534
	v_rcp_f32_e32 v53, v53                                     // 000000005BC4: 7E6A4535
	v_rcp_f32_e32 v54, v54                                     // 000000005BC8: 7E6C4536
	v_rcp_f32_e32 v55, v55                                     // 000000005BCC: 7E6E4537
	v_mul_f32_e32 v152, v152, v52                              // 000000005BD0: 0B306998
	v_mul_f32_e32 v153, v153, v53                              // 000000005BD4: 0B326B99
	v_mul_f32_e32 v154, v154, v54                              // 000000005BD8: 0B346D9A
	v_mul_f32_e32 v155, v155, v55                              // 000000005BDC: 0B366F9B
	v_mul_f32_e32 v152, v152, v88                              // 000000005BE0: 0B30B198
	v_mul_f32_e32 v153, v153, v89                              // 000000005BE4: 0B32B399
	v_mul_f32_e32 v154, v154, v90                              // 000000005BE8: 0B34B59A
	v_mul_f32_e32 v155, v155, v91                              // 000000005BEC: 0B36B79B
	buffer_load_dwordx4 a[56:59], v44, s[12:15], 0 offen       // 000000005BF0: E05C1000 8083382C
	v_mul_f32_e32 v52, v156, v156                              // 000000005BF8: 0A69399C
	v_mul_f32_e32 v53, v157, v157                              // 000000005BFC: 0A6B3B9D
	v_mul_f32_e32 v54, v158, v158                              // 000000005C00: 0A6D3D9E
	v_mul_f32_e32 v55, v159, v159                              // 000000005C04: 0A6F3F9F
	v_fma_f32 v52, v52, s77, v1                                // 000000005C08: D1CB0034 04049B34
	v_fma_f32 v53, v53, s77, v1                                // 000000005C10: D1CB0035 04049B35
	v_fma_f32 v54, v54, s77, v1                                // 000000005C18: D1CB0036 04049B36
	v_fma_f32 v55, v55, s77, v1                                // 000000005C20: D1CB0037 04049B37
	v_mul_f32_e32 v52, v52, v156                               // 000000005C28: 0A693934
	v_mul_f32_e32 v53, v53, v157                               // 000000005C2C: 0A6B3B35
	v_mul_f32_e32 v54, v54, v158                               // 000000005C30: 0A6D3D36
	v_mul_f32_e32 v55, v55, v159                               // 000000005C34: 0A6F3F37
	v_mul_f32_e64 v52, v52, s6                                 // 000000005C38: D1050034 00000D34
	v_mul_f32_e64 v53, v53, s6                                 // 000000005C40: D1050035 00000D35
	v_mul_f32_e64 v54, v54, s6                                 // 000000005C48: D1050036 00000D36
	v_mul_f32_e64 v55, v55, s6                                 // 000000005C50: D1050037 00000D37
	v_exp_f32_e32 v52, v52                                     // 000000005C58: 7E684134
	v_exp_f32_e32 v53, v53                                     // 000000005C5C: 7E6A4135
	v_exp_f32_e32 v54, v54                                     // 000000005C60: 7E6C4136
	v_exp_f32_e32 v55, v55                                     // 000000005C64: 7E6E4137
	buffer_load_dwordx4 a[60:63], v45, s[12:15], 0 offen       // 000000005C68: E05C1000 80833C2D
	s_add_u32 s12, s78, s12                                    // 000000005C70: 800C0C4E
	s_addc_u32 s13, 0, s13                                     // 000000005C74: 820D0D80
	v_add_f32_e64 v52, v52, 1.0                                // 000000005C78: D1010034 0001E534
	v_add_f32_e64 v53, v53, 1.0                                // 000000005C80: D1010035 0001E535
	v_add_f32_e64 v54, v54, 1.0                                // 000000005C88: D1010036 0001E536
	v_add_f32_e64 v55, v55, 1.0                                // 000000005C90: D1010037 0001E537
	v_rcp_f32_e32 v52, v52                                     // 000000005C98: 7E684534
	v_rcp_f32_e32 v53, v53                                     // 000000005C9C: 7E6A4535
	v_rcp_f32_e32 v54, v54                                     // 000000005CA0: 7E6C4536
	v_rcp_f32_e32 v55, v55                                     // 000000005CA4: 7E6E4537
	v_mul_f32_e32 v156, v156, v52                              // 000000005CA8: 0B38699C
	v_mul_f32_e32 v157, v157, v53                              // 000000005CAC: 0B3A6B9D
	v_mul_f32_e32 v158, v158, v54                              // 000000005CB0: 0B3C6D9E
	v_mul_f32_e32 v159, v159, v55                              // 000000005CB4: 0B3E6F9F
	v_mul_f32_e32 v156, v156, v92                              // 000000005CB8: 0B38B99C
	v_mul_f32_e32 v157, v157, v93                              // 000000005CBC: 0B3ABB9D
	v_mul_f32_e32 v158, v158, v94                              // 000000005CC0: 0B3CBD9E
	v_mul_f32_e32 v159, v159, v95                              // 000000005CC4: 0B3EBF9F
	s_waitcnt vmcnt(28)                                        // 000000005CC8: BF8C4F7C
	buffer_load_dwordx4 a[64:67], v42, s[12:15], 0 offen       // 000000005CCC: E05C1000 8083402A
	v_mul_f32_e32 v52, v160, v160                              // 000000005CD4: 0A6941A0
	v_mul_f32_e32 v53, v161, v161                              // 000000005CD8: 0A6B43A1
	v_mul_f32_e32 v54, v162, v162                              // 000000005CDC: 0A6D45A2
	v_mul_f32_e32 v55, v163, v163                              // 000000005CE0: 0A6F47A3
	v_fma_f32 v52, v52, s77, v1                                // 000000005CE4: D1CB0034 04049B34
	v_fma_f32 v53, v53, s77, v1                                // 000000005CEC: D1CB0035 04049B35
	v_fma_f32 v54, v54, s77, v1                                // 000000005CF4: D1CB0036 04049B36
	v_fma_f32 v55, v55, s77, v1                                // 000000005CFC: D1CB0037 04049B37
	v_mul_f32_e32 v52, v52, v160                               // 000000005D04: 0A694134
	v_mul_f32_e32 v53, v53, v161                               // 000000005D08: 0A6B4335
	v_mul_f32_e32 v54, v54, v162                               // 000000005D0C: 0A6D4536
	v_mul_f32_e32 v55, v55, v163                               // 000000005D10: 0A6F4737
	v_mul_f32_e64 v52, v52, s6                                 // 000000005D14: D1050034 00000D34
	v_mul_f32_e64 v53, v53, s6                                 // 000000005D1C: D1050035 00000D35
	v_mul_f32_e64 v54, v54, s6                                 // 000000005D24: D1050036 00000D36
	v_mul_f32_e64 v55, v55, s6                                 // 000000005D2C: D1050037 00000D37
	v_exp_f32_e32 v52, v52                                     // 000000005D34: 7E684134
	v_exp_f32_e32 v53, v53                                     // 000000005D38: 7E6A4135
	v_exp_f32_e32 v54, v54                                     // 000000005D3C: 7E6C4136
	v_exp_f32_e32 v55, v55                                     // 000000005D40: 7E6E4137
	buffer_load_dwordx4 a[68:71], v43, s[12:15], 0 offen       // 000000005D44: E05C1000 8083442B
	v_add_f32_e64 v52, v52, 1.0                                // 000000005D4C: D1010034 0001E534
	v_add_f32_e64 v53, v53, 1.0                                // 000000005D54: D1010035 0001E535
	v_add_f32_e64 v54, v54, 1.0                                // 000000005D5C: D1010036 0001E536
	v_add_f32_e64 v55, v55, 1.0                                // 000000005D64: D1010037 0001E537
	v_rcp_f32_e32 v52, v52                                     // 000000005D6C: 7E684534
	v_rcp_f32_e32 v53, v53                                     // 000000005D70: 7E6A4535
	v_rcp_f32_e32 v54, v54                                     // 000000005D74: 7E6C4536
	v_rcp_f32_e32 v55, v55                                     // 000000005D78: 7E6E4537
	v_mul_f32_e32 v160, v160, v52                              // 000000005D7C: 0B4069A0
	v_mul_f32_e32 v161, v161, v53                              // 000000005D80: 0B426BA1
	v_mul_f32_e32 v162, v162, v54                              // 000000005D84: 0B446DA2
	v_mul_f32_e32 v163, v163, v55                              // 000000005D88: 0B466FA3
	v_mul_f32_e32 v160, v160, v96                              // 000000005D8C: 0B40C1A0
	v_mul_f32_e32 v161, v161, v97                              // 000000005D90: 0B42C3A1
	v_mul_f32_e32 v162, v162, v98                              // 000000005D94: 0B44C5A2
	v_mul_f32_e32 v163, v163, v99                              // 000000005D98: 0B46C7A3
	buffer_load_dwordx4 a[72:75], v44, s[12:15], 0 offen       // 000000005D9C: E05C1000 8083482C
	v_mul_f32_e32 v52, v164, v164                              // 000000005DA4: 0A6949A4
	v_mul_f32_e32 v53, v165, v165                              // 000000005DA8: 0A6B4BA5
	v_mul_f32_e32 v54, v166, v166                              // 000000005DAC: 0A6D4DA6
	v_mul_f32_e32 v55, v167, v167                              // 000000005DB0: 0A6F4FA7
	v_fma_f32 v52, v52, s77, v1                                // 000000005DB4: D1CB0034 04049B34
	v_fma_f32 v53, v53, s77, v1                                // 000000005DBC: D1CB0035 04049B35
	v_fma_f32 v54, v54, s77, v1                                // 000000005DC4: D1CB0036 04049B36
	v_fma_f32 v55, v55, s77, v1                                // 000000005DCC: D1CB0037 04049B37
	v_mul_f32_e32 v52, v52, v164                               // 000000005DD4: 0A694934
	v_mul_f32_e32 v53, v53, v165                               // 000000005DD8: 0A6B4B35
	v_mul_f32_e32 v54, v54, v166                               // 000000005DDC: 0A6D4D36
	v_mul_f32_e32 v55, v55, v167                               // 000000005DE0: 0A6F4F37
	v_mul_f32_e64 v52, v52, s6                                 // 000000005DE4: D1050034 00000D34
	v_mul_f32_e64 v53, v53, s6                                 // 000000005DEC: D1050035 00000D35
	v_mul_f32_e64 v54, v54, s6                                 // 000000005DF4: D1050036 00000D36
	v_mul_f32_e64 v55, v55, s6                                 // 000000005DFC: D1050037 00000D37
	v_exp_f32_e32 v52, v52                                     // 000000005E04: 7E684134
	v_exp_f32_e32 v53, v53                                     // 000000005E08: 7E6A4135
	v_exp_f32_e32 v54, v54                                     // 000000005E0C: 7E6C4136
	v_exp_f32_e32 v55, v55                                     // 000000005E10: 7E6E4137
	buffer_load_dwordx4 a[76:79], v45, s[12:15], 0 offen       // 000000005E14: E05C1000 80834C2D
	s_add_u32 s12, s78, s12                                    // 000000005E1C: 800C0C4E
	s_addc_u32 s13, 0, s13                                     // 000000005E20: 820D0D80
	v_add_f32_e64 v52, v52, 1.0                                // 000000005E24: D1010034 0001E534
	v_add_f32_e64 v53, v53, 1.0                                // 000000005E2C: D1010035 0001E535
	v_add_f32_e64 v54, v54, 1.0                                // 000000005E34: D1010036 0001E536
	v_add_f32_e64 v55, v55, 1.0                                // 000000005E3C: D1010037 0001E537
	v_rcp_f32_e32 v52, v52                                     // 000000005E44: 7E684534
	v_rcp_f32_e32 v53, v53                                     // 000000005E48: 7E6A4535
	v_rcp_f32_e32 v54, v54                                     // 000000005E4C: 7E6C4536
	v_rcp_f32_e32 v55, v55                                     // 000000005E50: 7E6E4537
	v_mul_f32_e32 v164, v164, v52                              // 000000005E54: 0B4869A4
	v_mul_f32_e32 v165, v165, v53                              // 000000005E58: 0B4A6BA5
	v_mul_f32_e32 v166, v166, v54                              // 000000005E5C: 0B4C6DA6
	v_mul_f32_e32 v167, v167, v55                              // 000000005E60: 0B4E6FA7
	v_mul_f32_e32 v164, v164, v100                             // 000000005E64: 0B48C9A4
	v_mul_f32_e32 v165, v165, v101                             // 000000005E68: 0B4ACBA5
	v_mul_f32_e32 v166, v166, v102                             // 000000005E6C: 0B4CCDA6
	v_mul_f32_e32 v167, v167, v103                             // 000000005E70: 0B4ECFA7
	s_waitcnt vmcnt(28)                                        // 000000005E74: BF8C4F7C
	buffer_load_dwordx4 a[80:83], v42, s[12:15], 0 offen       // 000000005E78: E05C1000 8083502A
	v_mul_f32_e32 v52, v168, v168                              // 000000005E80: 0A6951A8
	v_mul_f32_e32 v53, v169, v169                              // 000000005E84: 0A6B53A9
	v_mul_f32_e32 v54, v170, v170                              // 000000005E88: 0A6D55AA
	v_mul_f32_e32 v55, v171, v171                              // 000000005E8C: 0A6F57AB
	v_fma_f32 v52, v52, s77, v1                                // 000000005E90: D1CB0034 04049B34
	v_fma_f32 v53, v53, s77, v1                                // 000000005E98: D1CB0035 04049B35
	v_fma_f32 v54, v54, s77, v1                                // 000000005EA0: D1CB0036 04049B36
	v_fma_f32 v55, v55, s77, v1                                // 000000005EA8: D1CB0037 04049B37
	v_mul_f32_e32 v52, v52, v168                               // 000000005EB0: 0A695134
	v_mul_f32_e32 v53, v53, v169                               // 000000005EB4: 0A6B5335
	v_mul_f32_e32 v54, v54, v170                               // 000000005EB8: 0A6D5536
	v_mul_f32_e32 v55, v55, v171                               // 000000005EBC: 0A6F5737
	v_mul_f32_e64 v52, v52, s6                                 // 000000005EC0: D1050034 00000D34
	v_mul_f32_e64 v53, v53, s6                                 // 000000005EC8: D1050035 00000D35
	v_mul_f32_e64 v54, v54, s6                                 // 000000005ED0: D1050036 00000D36
	v_mul_f32_e64 v55, v55, s6                                 // 000000005ED8: D1050037 00000D37
	v_exp_f32_e32 v52, v52                                     // 000000005EE0: 7E684134
	v_exp_f32_e32 v53, v53                                     // 000000005EE4: 7E6A4135
	v_exp_f32_e32 v54, v54                                     // 000000005EE8: 7E6C4136
	v_exp_f32_e32 v55, v55                                     // 000000005EEC: 7E6E4137
	buffer_load_dwordx4 a[84:87], v43, s[12:15], 0 offen       // 000000005EF0: E05C1000 8083542B
	v_add_f32_e64 v52, v52, 1.0                                // 000000005EF8: D1010034 0001E534
	v_add_f32_e64 v53, v53, 1.0                                // 000000005F00: D1010035 0001E535
	v_add_f32_e64 v54, v54, 1.0                                // 000000005F08: D1010036 0001E536
	v_add_f32_e64 v55, v55, 1.0                                // 000000005F10: D1010037 0001E537
	v_rcp_f32_e32 v52, v52                                     // 000000005F18: 7E684534
	v_rcp_f32_e32 v53, v53                                     // 000000005F1C: 7E6A4535
	v_rcp_f32_e32 v54, v54                                     // 000000005F20: 7E6C4536
	v_rcp_f32_e32 v55, v55                                     // 000000005F24: 7E6E4537
	v_mul_f32_e32 v168, v168, v52                              // 000000005F28: 0B5069A8
	v_mul_f32_e32 v169, v169, v53                              // 000000005F2C: 0B526BA9
	v_mul_f32_e32 v170, v170, v54                              // 000000005F30: 0B546DAA
	v_mul_f32_e32 v171, v171, v55                              // 000000005F34: 0B566FAB
	v_mul_f32_e32 v168, v168, v104                             // 000000005F38: 0B50D1A8
	v_mul_f32_e32 v169, v169, v105                             // 000000005F3C: 0B52D3A9
	v_mul_f32_e32 v170, v170, v106                             // 000000005F40: 0B54D5AA
	v_mul_f32_e32 v171, v171, v107                             // 000000005F44: 0B56D7AB
	buffer_load_dwordx4 a[88:91], v44, s[12:15], 0 offen       // 000000005F48: E05C1000 8083582C
	v_mul_f32_e32 v52, v172, v172                              // 000000005F50: 0A6959AC
	v_mul_f32_e32 v53, v173, v173                              // 000000005F54: 0A6B5BAD
	v_mul_f32_e32 v54, v174, v174                              // 000000005F58: 0A6D5DAE
	v_mul_f32_e32 v55, v175, v175                              // 000000005F5C: 0A6F5FAF
	v_fma_f32 v52, v52, s77, v1                                // 000000005F60: D1CB0034 04049B34
	v_fma_f32 v53, v53, s77, v1                                // 000000005F68: D1CB0035 04049B35
	v_fma_f32 v54, v54, s77, v1                                // 000000005F70: D1CB0036 04049B36
	v_fma_f32 v55, v55, s77, v1                                // 000000005F78: D1CB0037 04049B37
	v_mul_f32_e32 v52, v52, v172                               // 000000005F80: 0A695934
	v_mul_f32_e32 v53, v53, v173                               // 000000005F84: 0A6B5B35
	v_mul_f32_e32 v54, v54, v174                               // 000000005F88: 0A6D5D36
	v_mul_f32_e32 v55, v55, v175                               // 000000005F8C: 0A6F5F37
	v_mul_f32_e64 v52, v52, s6                                 // 000000005F90: D1050034 00000D34
	v_mul_f32_e64 v53, v53, s6                                 // 000000005F98: D1050035 00000D35
	v_mul_f32_e64 v54, v54, s6                                 // 000000005FA0: D1050036 00000D36
	v_mul_f32_e64 v55, v55, s6                                 // 000000005FA8: D1050037 00000D37
	v_exp_f32_e32 v52, v52                                     // 000000005FB0: 7E684134
	v_exp_f32_e32 v53, v53                                     // 000000005FB4: 7E6A4135
	v_exp_f32_e32 v54, v54                                     // 000000005FB8: 7E6C4136
	v_exp_f32_e32 v55, v55                                     // 000000005FBC: 7E6E4137
	buffer_load_dwordx4 a[92:95], v45, s[12:15], 0 offen       // 000000005FC0: E05C1000 80835C2D
	s_add_u32 s12, s78, s12                                    // 000000005FC8: 800C0C4E
	s_addc_u32 s13, 0, s13                                     // 000000005FCC: 820D0D80
	v_add_f32_e64 v52, v52, 1.0                                // 000000005FD0: D1010034 0001E534
	v_add_f32_e64 v53, v53, 1.0                                // 000000005FD8: D1010035 0001E535
	v_add_f32_e64 v54, v54, 1.0                                // 000000005FE0: D1010036 0001E536
	v_add_f32_e64 v55, v55, 1.0                                // 000000005FE8: D1010037 0001E537
	v_rcp_f32_e32 v52, v52                                     // 000000005FF0: 7E684534
	v_rcp_f32_e32 v53, v53                                     // 000000005FF4: 7E6A4535
	v_rcp_f32_e32 v54, v54                                     // 000000005FF8: 7E6C4536
	v_rcp_f32_e32 v55, v55                                     // 000000005FFC: 7E6E4537
	v_mul_f32_e32 v172, v172, v52                              // 000000006000: 0B5869AC
	v_mul_f32_e32 v173, v173, v53                              // 000000006004: 0B5A6BAD
	v_mul_f32_e32 v174, v174, v54                              // 000000006008: 0B5C6DAE
	v_mul_f32_e32 v175, v175, v55                              // 00000000600C: 0B5E6FAF
	v_mul_f32_e32 v172, v172, v108                             // 000000006010: 0B58D9AC
	v_mul_f32_e32 v173, v173, v109                             // 000000006014: 0B5ADBAD
	v_mul_f32_e32 v174, v174, v110                             // 000000006018: 0B5CDDAE
	v_mul_f32_e32 v175, v175, v111                             // 00000000601C: 0B5EDFAF
	s_waitcnt vmcnt(28)                                        // 000000006020: BF8C4F7C
	buffer_load_dwordx4 a[96:99], v42, s[12:15], 0 offen       // 000000006024: E05C1000 8083602A
	v_mul_f32_e32 v52, v176, v176                              // 00000000602C: 0A6961B0
	v_mul_f32_e32 v53, v177, v177                              // 000000006030: 0A6B63B1
	v_mul_f32_e32 v54, v178, v178                              // 000000006034: 0A6D65B2
	v_mul_f32_e32 v55, v179, v179                              // 000000006038: 0A6F67B3
	v_fma_f32 v52, v52, s77, v1                                // 00000000603C: D1CB0034 04049B34
	v_fma_f32 v53, v53, s77, v1                                // 000000006044: D1CB0035 04049B35
	v_fma_f32 v54, v54, s77, v1                                // 00000000604C: D1CB0036 04049B36
	v_fma_f32 v55, v55, s77, v1                                // 000000006054: D1CB0037 04049B37
	v_mul_f32_e32 v52, v52, v176                               // 00000000605C: 0A696134
	v_mul_f32_e32 v53, v53, v177                               // 000000006060: 0A6B6335
	v_mul_f32_e32 v54, v54, v178                               // 000000006064: 0A6D6536
	v_mul_f32_e32 v55, v55, v179                               // 000000006068: 0A6F6737
	v_mul_f32_e64 v52, v52, s6                                 // 00000000606C: D1050034 00000D34
	v_mul_f32_e64 v53, v53, s6                                 // 000000006074: D1050035 00000D35
	v_mul_f32_e64 v54, v54, s6                                 // 00000000607C: D1050036 00000D36
	v_mul_f32_e64 v55, v55, s6                                 // 000000006084: D1050037 00000D37
	v_exp_f32_e32 v52, v52                                     // 00000000608C: 7E684134
	v_exp_f32_e32 v53, v53                                     // 000000006090: 7E6A4135
	v_exp_f32_e32 v54, v54                                     // 000000006094: 7E6C4136
	v_exp_f32_e32 v55, v55                                     // 000000006098: 7E6E4137
	buffer_load_dwordx4 a[100:103], v43, s[12:15], 0 offen     // 00000000609C: E05C1000 8083642B
	v_add_f32_e64 v52, v52, 1.0                                // 0000000060A4: D1010034 0001E534
	v_add_f32_e64 v53, v53, 1.0                                // 0000000060AC: D1010035 0001E535
	v_add_f32_e64 v54, v54, 1.0                                // 0000000060B4: D1010036 0001E536
	v_add_f32_e64 v55, v55, 1.0                                // 0000000060BC: D1010037 0001E537
	v_rcp_f32_e32 v52, v52                                     // 0000000060C4: 7E684534
	v_rcp_f32_e32 v53, v53                                     // 0000000060C8: 7E6A4535
	v_rcp_f32_e32 v54, v54                                     // 0000000060CC: 7E6C4536
	v_rcp_f32_e32 v55, v55                                     // 0000000060D0: 7E6E4537
	v_mul_f32_e32 v176, v176, v52                              // 0000000060D4: 0B6069B0
	v_mul_f32_e32 v177, v177, v53                              // 0000000060D8: 0B626BB1
	v_mul_f32_e32 v178, v178, v54                              // 0000000060DC: 0B646DB2
	v_mul_f32_e32 v179, v179, v55                              // 0000000060E0: 0B666FB3
	v_mul_f32_e32 v176, v176, v112                             // 0000000060E4: 0B60E1B0
	v_mul_f32_e32 v177, v177, v113                             // 0000000060E8: 0B62E3B1
	v_mul_f32_e32 v178, v178, v114                             // 0000000060EC: 0B64E5B2
	v_mul_f32_e32 v179, v179, v115                             // 0000000060F0: 0B66E7B3
	buffer_load_dwordx4 a[104:107], v44, s[12:15], 0 offen     // 0000000060F4: E05C1000 8083682C
	v_mul_f32_e32 v52, v180, v180                              // 0000000060FC: 0A6969B4
	v_mul_f32_e32 v53, v181, v181                              // 000000006100: 0A6B6BB5
	v_mul_f32_e32 v54, v182, v182                              // 000000006104: 0A6D6DB6
	v_mul_f32_e32 v55, v183, v183                              // 000000006108: 0A6F6FB7
	v_fma_f32 v52, v52, s77, v1                                // 00000000610C: D1CB0034 04049B34
	v_fma_f32 v53, v53, s77, v1                                // 000000006114: D1CB0035 04049B35
	v_fma_f32 v54, v54, s77, v1                                // 00000000611C: D1CB0036 04049B36
	v_fma_f32 v55, v55, s77, v1                                // 000000006124: D1CB0037 04049B37
	v_mul_f32_e32 v52, v52, v180                               // 00000000612C: 0A696934
	v_mul_f32_e32 v53, v53, v181                               // 000000006130: 0A6B6B35
	v_mul_f32_e32 v54, v54, v182                               // 000000006134: 0A6D6D36
	v_mul_f32_e32 v55, v55, v183                               // 000000006138: 0A6F6F37
	v_mul_f32_e64 v52, v52, s6                                 // 00000000613C: D1050034 00000D34
	v_mul_f32_e64 v53, v53, s6                                 // 000000006144: D1050035 00000D35
	v_mul_f32_e64 v54, v54, s6                                 // 00000000614C: D1050036 00000D36
	v_mul_f32_e64 v55, v55, s6                                 // 000000006154: D1050037 00000D37
	v_exp_f32_e32 v52, v52                                     // 00000000615C: 7E684134
	v_exp_f32_e32 v53, v53                                     // 000000006160: 7E6A4135
	v_exp_f32_e32 v54, v54                                     // 000000006164: 7E6C4136
	v_exp_f32_e32 v55, v55                                     // 000000006168: 7E6E4137
	buffer_load_dwordx4 a[108:111], v45, s[12:15], 0 offen     // 00000000616C: E05C1000 80836C2D
	s_add_u32 s12, s78, s12                                    // 000000006174: 800C0C4E
	s_addc_u32 s13, 0, s13                                     // 000000006178: 820D0D80
	v_add_f32_e64 v52, v52, 1.0                                // 00000000617C: D1010034 0001E534
	v_add_f32_e64 v53, v53, 1.0                                // 000000006184: D1010035 0001E535
	v_add_f32_e64 v54, v54, 1.0                                // 00000000618C: D1010036 0001E536
	v_add_f32_e64 v55, v55, 1.0                                // 000000006194: D1010037 0001E537
	v_rcp_f32_e32 v52, v52                                     // 00000000619C: 7E684534
	v_rcp_f32_e32 v53, v53                                     // 0000000061A0: 7E6A4535
	v_rcp_f32_e32 v54, v54                                     // 0000000061A4: 7E6C4536
	v_rcp_f32_e32 v55, v55                                     // 0000000061A8: 7E6E4537
	v_mul_f32_e32 v180, v180, v52                              // 0000000061AC: 0B6869B4
	v_mul_f32_e32 v181, v181, v53                              // 0000000061B0: 0B6A6BB5
	v_mul_f32_e32 v182, v182, v54                              // 0000000061B4: 0B6C6DB6
	v_mul_f32_e32 v183, v183, v55                              // 0000000061B8: 0B6E6FB7
	v_mul_f32_e32 v180, v180, v116                             // 0000000061BC: 0B68E9B4
	v_mul_f32_e32 v181, v181, v117                             // 0000000061C0: 0B6AEBB5
	v_mul_f32_e32 v182, v182, v118                             // 0000000061C4: 0B6CEDB6
	v_mul_f32_e32 v183, v183, v119                             // 0000000061C8: 0B6EEFB7
	s_waitcnt vmcnt(28)                                        // 0000000061CC: BF8C4F7C
	buffer_load_dwordx4 a[112:115], v42, s[12:15], 0 offen     // 0000000061D0: E05C1000 8083702A
	v_mul_f32_e32 v52, v184, v184                              // 0000000061D8: 0A6971B8
	v_mul_f32_e32 v53, v185, v185                              // 0000000061DC: 0A6B73B9
	v_mul_f32_e32 v54, v186, v186                              // 0000000061E0: 0A6D75BA
	v_mul_f32_e32 v55, v187, v187                              // 0000000061E4: 0A6F77BB
	v_fma_f32 v52, v52, s77, v1                                // 0000000061E8: D1CB0034 04049B34
	v_fma_f32 v53, v53, s77, v1                                // 0000000061F0: D1CB0035 04049B35
	v_fma_f32 v54, v54, s77, v1                                // 0000000061F8: D1CB0036 04049B36
	v_fma_f32 v55, v55, s77, v1                                // 000000006200: D1CB0037 04049B37
	v_mul_f32_e32 v52, v52, v184                               // 000000006208: 0A697134
	v_mul_f32_e32 v53, v53, v185                               // 00000000620C: 0A6B7335
	v_mul_f32_e32 v54, v54, v186                               // 000000006210: 0A6D7536
	v_mul_f32_e32 v55, v55, v187                               // 000000006214: 0A6F7737
	v_mul_f32_e64 v52, v52, s6                                 // 000000006218: D1050034 00000D34
	v_mul_f32_e64 v53, v53, s6                                 // 000000006220: D1050035 00000D35
	v_mul_f32_e64 v54, v54, s6                                 // 000000006228: D1050036 00000D36
	v_mul_f32_e64 v55, v55, s6                                 // 000000006230: D1050037 00000D37
	v_exp_f32_e32 v52, v52                                     // 000000006238: 7E684134
	v_exp_f32_e32 v53, v53                                     // 00000000623C: 7E6A4135
	v_exp_f32_e32 v54, v54                                     // 000000006240: 7E6C4136
	v_exp_f32_e32 v55, v55                                     // 000000006244: 7E6E4137
	buffer_load_dwordx4 a[116:119], v43, s[12:15], 0 offen     // 000000006248: E05C1000 8083742B
	v_add_f32_e64 v52, v52, 1.0                                // 000000006250: D1010034 0001E534
	v_add_f32_e64 v53, v53, 1.0                                // 000000006258: D1010035 0001E535
	v_add_f32_e64 v54, v54, 1.0                                // 000000006260: D1010036 0001E536
	v_add_f32_e64 v55, v55, 1.0                                // 000000006268: D1010037 0001E537
	v_rcp_f32_e32 v52, v52                                     // 000000006270: 7E684534
	v_rcp_f32_e32 v53, v53                                     // 000000006274: 7E6A4535
	v_rcp_f32_e32 v54, v54                                     // 000000006278: 7E6C4536
	v_rcp_f32_e32 v55, v55                                     // 00000000627C: 7E6E4537
	v_mul_f32_e32 v184, v184, v52                              // 000000006280: 0B7069B8
	v_mul_f32_e32 v185, v185, v53                              // 000000006284: 0B726BB9
	v_mul_f32_e32 v186, v186, v54                              // 000000006288: 0B746DBA
	v_mul_f32_e32 v187, v187, v55                              // 00000000628C: 0B766FBB
	v_mul_f32_e32 v184, v184, v120                             // 000000006290: 0B70F1B8
	v_mul_f32_e32 v185, v185, v121                             // 000000006294: 0B72F3B9
	v_mul_f32_e32 v186, v186, v122                             // 000000006298: 0B74F5BA
	v_mul_f32_e32 v187, v187, v123                             // 00000000629C: 0B76F7BB
	buffer_load_dwordx4 a[120:123], v44, s[12:15], 0 offen     // 0000000062A0: E05C1000 8083782C
	v_mul_f32_e32 v52, v188, v188                              // 0000000062A8: 0A6979BC
	v_mul_f32_e32 v53, v189, v189                              // 0000000062AC: 0A6B7BBD
	v_mul_f32_e32 v54, v190, v190                              // 0000000062B0: 0A6D7DBE
	v_mul_f32_e32 v55, v191, v191                              // 0000000062B4: 0A6F7FBF
	v_fma_f32 v52, v52, s77, v1                                // 0000000062B8: D1CB0034 04049B34
	v_fma_f32 v53, v53, s77, v1                                // 0000000062C0: D1CB0035 04049B35
	v_fma_f32 v54, v54, s77, v1                                // 0000000062C8: D1CB0036 04049B36
	v_fma_f32 v55, v55, s77, v1                                // 0000000062D0: D1CB0037 04049B37
	v_mul_f32_e32 v52, v52, v188                               // 0000000062D8: 0A697934
	v_mul_f32_e32 v53, v53, v189                               // 0000000062DC: 0A6B7B35
	v_mul_f32_e32 v54, v54, v190                               // 0000000062E0: 0A6D7D36
	v_mul_f32_e32 v55, v55, v191                               // 0000000062E4: 0A6F7F37
	v_mul_f32_e64 v52, v52, s6                                 // 0000000062E8: D1050034 00000D34
	v_mul_f32_e64 v53, v53, s6                                 // 0000000062F0: D1050035 00000D35
	v_mul_f32_e64 v54, v54, s6                                 // 0000000062F8: D1050036 00000D36
	v_mul_f32_e64 v55, v55, s6                                 // 000000006300: D1050037 00000D37
	v_exp_f32_e32 v52, v52                                     // 000000006308: 7E684134
	v_exp_f32_e32 v53, v53                                     // 00000000630C: 7E6A4135
	v_exp_f32_e32 v54, v54                                     // 000000006310: 7E6C4136
	v_exp_f32_e32 v55, v55                                     // 000000006314: 7E6E4137
	buffer_load_dwordx4 a[124:127], v45, s[12:15], 0 offen     // 000000006318: E05C1000 80837C2D
	v_add_f32_e64 v52, v52, 1.0                                // 000000006320: D1010034 0001E534
	v_add_f32_e64 v53, v53, 1.0                                // 000000006328: D1010035 0001E535
	v_add_f32_e64 v54, v54, 1.0                                // 000000006330: D1010036 0001E536
	v_add_f32_e64 v55, v55, 1.0                                // 000000006338: D1010037 0001E537
	v_rcp_f32_e32 v52, v52                                     // 000000006340: 7E684534
	v_rcp_f32_e32 v53, v53                                     // 000000006344: 7E6A4535
	v_rcp_f32_e32 v54, v54                                     // 000000006348: 7E6C4536
	v_rcp_f32_e32 v55, v55                                     // 00000000634C: 7E6E4537
	v_mul_f32_e32 v188, v188, v52                              // 000000006350: 0B7869BC
	v_mul_f32_e32 v189, v189, v53                              // 000000006354: 0B7A6BBD
	v_mul_f32_e32 v190, v190, v54                              // 000000006358: 0B7C6DBE
	v_mul_f32_e32 v191, v191, v55                              // 00000000635C: 0B7E6FBF
	v_mul_f32_e32 v188, v188, v124                             // 000000006360: 0B78F9BC
	v_mul_f32_e32 v189, v189, v125                             // 000000006364: 0B7AFBBD
	v_mul_f32_e32 v190, v190, v126                             // 000000006368: 0B7CFDBE
	v_mul_f32_e32 v191, v191, v127                             // 00000000636C: 0B7EFFBF
	v_mul_f32_dpp v128, v18, v128 row_newbcast:0 row_mask:0xf bank_mask:0xf// 000000006370: 0B0100FA FF015012
	v_mul_f32_dpp v129, v18, v129 row_newbcast:1 row_mask:0xf bank_mask:0xf// 000000006378: 0B0302FA FF015112
	v_mul_f32_dpp v130, v18, v130 row_newbcast:2 row_mask:0xf bank_mask:0xf// 000000006380: 0B0504FA FF015212
	v_mul_f32_dpp v131, v18, v131 row_newbcast:3 row_mask:0xf bank_mask:0xf// 000000006388: 0B0706FA FF015312
	v_mul_f32_dpp v132, v18, v132 row_newbcast:0 row_mask:0xf bank_mask:0xf// 000000006390: 0B0908FA FF015012
	v_mul_f32_dpp v133, v18, v133 row_newbcast:1 row_mask:0xf bank_mask:0xf// 000000006398: 0B0B0AFA FF015112
	v_mul_f32_dpp v134, v18, v134 row_newbcast:2 row_mask:0xf bank_mask:0xf// 0000000063A0: 0B0D0CFA FF015212
	v_mul_f32_dpp v135, v18, v135 row_newbcast:3 row_mask:0xf bank_mask:0xf// 0000000063A8: 0B0F0EFA FF015312
	v_mul_f32_dpp v136, v18, v136 row_newbcast:4 row_mask:0xf bank_mask:0xf// 0000000063B0: 0B1110FA FF015412
	v_mul_f32_dpp v137, v18, v137 row_newbcast:5 row_mask:0xf bank_mask:0xf// 0000000063B8: 0B1312FA FF015512
	v_mul_f32_dpp v138, v18, v138 row_newbcast:6 row_mask:0xf bank_mask:0xf// 0000000063C0: 0B1514FA FF015612
	v_mul_f32_dpp v139, v18, v139 row_newbcast:7 row_mask:0xf bank_mask:0xf// 0000000063C8: 0B1716FA FF015712
	v_mul_f32_dpp v140, v18, v140 row_newbcast:4 row_mask:0xf bank_mask:0xf// 0000000063D0: 0B1918FA FF015412
	v_mul_f32_dpp v141, v18, v141 row_newbcast:5 row_mask:0xf bank_mask:0xf// 0000000063D8: 0B1B1AFA FF015512
	v_mul_f32_dpp v142, v18, v142 row_newbcast:6 row_mask:0xf bank_mask:0xf// 0000000063E0: 0B1D1CFA FF015612
	v_mul_f32_dpp v143, v18, v143 row_newbcast:7 row_mask:0xf bank_mask:0xf// 0000000063E8: 0B1F1EFA FF015712
	v_mul_f32_dpp v144, v18, v144 row_newbcast:8 row_mask:0xf bank_mask:0xf// 0000000063F0: 0B2120FA FF015812
	v_mul_f32_dpp v145, v18, v145 row_newbcast:9 row_mask:0xf bank_mask:0xf// 0000000063F8: 0B2322FA FF015912
	v_mul_f32_dpp v146, v18, v146 row_newbcast:10 row_mask:0xf bank_mask:0xf// 000000006400: 0B2524FA FF015A12
	v_mul_f32_dpp v147, v18, v147 row_newbcast:11 row_mask:0xf bank_mask:0xf// 000000006408: 0B2726FA FF015B12
	v_mul_f32_dpp v148, v18, v148 row_newbcast:8 row_mask:0xf bank_mask:0xf// 000000006410: 0B2928FA FF015812
	v_mul_f32_dpp v149, v18, v149 row_newbcast:9 row_mask:0xf bank_mask:0xf// 000000006418: 0B2B2AFA FF015912
	v_mul_f32_dpp v150, v18, v150 row_newbcast:10 row_mask:0xf bank_mask:0xf// 000000006420: 0B2D2CFA FF015A12
	v_mul_f32_dpp v151, v18, v151 row_newbcast:11 row_mask:0xf bank_mask:0xf// 000000006428: 0B2F2EFA FF015B12
	v_mul_f32_dpp v152, v18, v152 row_newbcast:12 row_mask:0xf bank_mask:0xf// 000000006430: 0B3130FA FF015C12
	v_mul_f32_dpp v153, v18, v153 row_newbcast:13 row_mask:0xf bank_mask:0xf// 000000006438: 0B3332FA FF015D12
	v_mul_f32_dpp v154, v18, v154 row_newbcast:14 row_mask:0xf bank_mask:0xf// 000000006440: 0B3534FA FF015E12
	v_mul_f32_dpp v155, v18, v155 row_newbcast:15 row_mask:0xf bank_mask:0xf// 000000006448: 0B3736FA FF015F12
	v_mul_f32_dpp v156, v18, v156 row_newbcast:12 row_mask:0xf bank_mask:0xf// 000000006450: 0B3938FA FF015C12
	v_mul_f32_dpp v157, v18, v157 row_newbcast:13 row_mask:0xf bank_mask:0xf// 000000006458: 0B3B3AFA FF015D12
	v_mul_f32_dpp v158, v18, v158 row_newbcast:14 row_mask:0xf bank_mask:0xf// 000000006460: 0B3D3CFA FF015E12
	v_mul_f32_dpp v159, v18, v159 row_newbcast:15 row_mask:0xf bank_mask:0xf// 000000006468: 0B3F3EFA FF015F12
	v_mul_f32_dpp v160, v19, v160 row_newbcast:0 row_mask:0xf bank_mask:0xf// 000000006470: 0B4140FA FF015013
	v_mul_f32_dpp v161, v19, v161 row_newbcast:1 row_mask:0xf bank_mask:0xf// 000000006478: 0B4342FA FF015113
	v_mul_f32_dpp v162, v19, v162 row_newbcast:2 row_mask:0xf bank_mask:0xf// 000000006480: 0B4544FA FF015213
	v_mul_f32_dpp v163, v19, v163 row_newbcast:3 row_mask:0xf bank_mask:0xf// 000000006488: 0B4746FA FF015313
	v_mul_f32_dpp v164, v19, v164 row_newbcast:0 row_mask:0xf bank_mask:0xf// 000000006490: 0B4948FA FF015013
	v_mul_f32_dpp v165, v19, v165 row_newbcast:1 row_mask:0xf bank_mask:0xf// 000000006498: 0B4B4AFA FF015113
	v_mul_f32_dpp v166, v19, v166 row_newbcast:2 row_mask:0xf bank_mask:0xf// 0000000064A0: 0B4D4CFA FF015213
	v_mul_f32_dpp v167, v19, v167 row_newbcast:3 row_mask:0xf bank_mask:0xf// 0000000064A8: 0B4F4EFA FF015313
	v_mul_f32_dpp v168, v19, v168 row_newbcast:4 row_mask:0xf bank_mask:0xf// 0000000064B0: 0B5150FA FF015413
	v_mul_f32_dpp v169, v19, v169 row_newbcast:5 row_mask:0xf bank_mask:0xf// 0000000064B8: 0B5352FA FF015513
	v_mul_f32_dpp v170, v19, v170 row_newbcast:6 row_mask:0xf bank_mask:0xf// 0000000064C0: 0B5554FA FF015613
	v_mul_f32_dpp v171, v19, v171 row_newbcast:7 row_mask:0xf bank_mask:0xf// 0000000064C8: 0B5756FA FF015713
	v_mul_f32_dpp v172, v19, v172 row_newbcast:4 row_mask:0xf bank_mask:0xf// 0000000064D0: 0B5958FA FF015413
	v_mul_f32_dpp v173, v19, v173 row_newbcast:5 row_mask:0xf bank_mask:0xf// 0000000064D8: 0B5B5AFA FF015513
	v_mul_f32_dpp v174, v19, v174 row_newbcast:6 row_mask:0xf bank_mask:0xf// 0000000064E0: 0B5D5CFA FF015613
	v_mul_f32_dpp v175, v19, v175 row_newbcast:7 row_mask:0xf bank_mask:0xf// 0000000064E8: 0B5F5EFA FF015713
	v_mul_f32_dpp v176, v19, v176 row_newbcast:8 row_mask:0xf bank_mask:0xf// 0000000064F0: 0B6160FA FF015813
	v_mul_f32_dpp v177, v19, v177 row_newbcast:9 row_mask:0xf bank_mask:0xf// 0000000064F8: 0B6362FA FF015913
	v_mul_f32_dpp v178, v19, v178 row_newbcast:10 row_mask:0xf bank_mask:0xf// 000000006500: 0B6564FA FF015A13
	v_mul_f32_dpp v179, v19, v179 row_newbcast:11 row_mask:0xf bank_mask:0xf// 000000006508: 0B6766FA FF015B13
	v_mul_f32_dpp v180, v19, v180 row_newbcast:8 row_mask:0xf bank_mask:0xf// 000000006510: 0B6968FA FF015813
	v_mul_f32_dpp v181, v19, v181 row_newbcast:9 row_mask:0xf bank_mask:0xf// 000000006518: 0B6B6AFA FF015913
	v_mul_f32_dpp v182, v19, v182 row_newbcast:10 row_mask:0xf bank_mask:0xf// 000000006520: 0B6D6CFA FF015A13
	v_mul_f32_dpp v183, v19, v183 row_newbcast:11 row_mask:0xf bank_mask:0xf// 000000006528: 0B6F6EFA FF015B13
	v_mul_f32_dpp v184, v19, v184 row_newbcast:12 row_mask:0xf bank_mask:0xf// 000000006530: 0B7170FA FF015C13
	v_mul_f32_dpp v185, v19, v185 row_newbcast:13 row_mask:0xf bank_mask:0xf// 000000006538: 0B7372FA FF015D13
	v_mul_f32_dpp v186, v19, v186 row_newbcast:14 row_mask:0xf bank_mask:0xf// 000000006540: 0B7574FA FF015E13
	v_mul_f32_dpp v187, v19, v187 row_newbcast:15 row_mask:0xf bank_mask:0xf// 000000006548: 0B7776FA FF015F13
	v_mul_f32_dpp v188, v19, v188 row_newbcast:12 row_mask:0xf bank_mask:0xf// 000000006550: 0B7978FA FF015C13
	v_mul_f32_dpp v189, v19, v189 row_newbcast:13 row_mask:0xf bank_mask:0xf// 000000006558: 0B7B7AFA FF015D13
	v_mul_f32_dpp v190, v19, v190 row_newbcast:14 row_mask:0xf bank_mask:0xf// 000000006560: 0B7D7CFA FF015E13
	v_mul_f32_dpp v191, v19, v191 row_newbcast:15 row_mask:0xf bank_mask:0xf// 000000006568: 0B7F7EFA FF015F13
	v_lshlrev_b32_e32 v52, 2, v0                               // 000000006570: 24680082
	s_mul_i32 s60, s82, s71                                    // 000000006574: 923C4752
	v_add_u32_e64 v80, v52, s60                                // 000000006578: D1340050 00007934
	v_mov_b32_e32 v81, 0                                       // 000000006580: 7EA20280
	s_mul_i32 s60, s83, s71                                    // 000000006584: 923C4753
	v_add_u32_e64 v82, v52, s60                                // 000000006588: D1340052 00007934
	v_mov_b32_e32 v83, 0                                       // 000000006590: 7EA60280
	s_mul_i32 s60, s84, s71                                    // 000000006594: 923C4754
	v_add_u32_e64 v84, v52, s60                                // 000000006598: D1340054 00007934
	v_mov_b32_e32 v85, 0                                       // 0000000065A0: 7EAA0280
	s_mul_i32 s60, s85, s71                                    // 0000000065A4: 923C4755
	v_add_u32_e64 v86, v52, s60                                // 0000000065A8: D1340056 00007934
	v_mov_b32_e32 v87, 0                                       // 0000000065B0: 7EAE0280
	s_mul_i32 s60, s86, s71                                    // 0000000065B4: 923C4756
	v_add_u32_e64 v88, v52, s60                                // 0000000065B8: D1340058 00007934
	v_mov_b32_e32 v89, 0                                       // 0000000065C0: 7EB20280
	s_mul_i32 s60, s87, s71                                    // 0000000065C4: 923C4757
	v_add_u32_e64 v90, v52, s60                                // 0000000065C8: D134005A 00007934
	v_mov_b32_e32 v91, 0                                       // 0000000065D0: 7EB60280
	s_mul_i32 s60, s88, s71                                    // 0000000065D4: 923C4758
	v_add_u32_e64 v92, v52, s60                                // 0000000065D8: D134005C 00007934
	v_mov_b32_e32 v93, 0                                       // 0000000065E0: 7EBA0280
	s_mul_i32 s60, s89, s71                                    // 0000000065E4: 923C4759
	v_add_u32_e64 v94, v52, s60                                // 0000000065E8: D134005E 00007934
	v_mov_b32_e32 v95, 0                                       // 0000000065F0: 7EBE0280
	buffer_load_dword v12, v5, s[16:19], 0 offen               // 0000000065F4: E0501000 80040C05
	v_mov_b32_e32 v22, 0x358637bd                              // 0000000065FC: 7E2C02FF 358637BD
	v_mov_b32_e32 v23, 0x358637bd                              // 000000006604: 7E2E02FF 358637BD
	v_max3_f32 v22, |v128|, |v129|, v22                        // 00000000660C: D1D30316 045B0380
	v_max3_f32 v22, |v130|, |v131|, v22                        // 000000006614: D1D30316 045B0782
	v_max3_f32 v23, |v132|, |v133|, v23                        // 00000000661C: D1D30317 045F0B84
	v_max3_f32 v23, |v134|, |v135|, v23                        // 000000006624: D1D30317 045F0F86
	v_max3_f32 v22, |v136|, |v137|, v22                        // 00000000662C: D1D30316 045B1388
	v_max3_f32 v22, |v138|, |v139|, v22                        // 000000006634: D1D30316 045B178A
	v_max3_f32 v23, |v140|, |v141|, v23                        // 00000000663C: D1D30317 045F1B8C
	v_max3_f32 v23, |v142|, |v143|, v23                        // 000000006644: D1D30317 045F1F8E
	v_max3_f32 v22, |v144|, |v145|, v22                        // 00000000664C: D1D30316 045B2390
	v_max3_f32 v22, |v146|, |v147|, v22                        // 000000006654: D1D30316 045B2792
	v_max3_f32 v23, |v148|, |v149|, v23                        // 00000000665C: D1D30317 045F2B94
	v_max3_f32 v23, |v150|, |v151|, v23                        // 000000006664: D1D30317 045F2F96
	v_max3_f32 v22, |v152|, |v153|, v22                        // 00000000666C: D1D30316 045B3398
	v_max3_f32 v22, |v154|, |v155|, v22                        // 000000006674: D1D30316 045B379A
	v_max3_f32 v23, |v156|, |v157|, v23                        // 00000000667C: D1D30317 045F3B9C
	v_max3_f32 v23, |v158|, |v159|, v23                        // 000000006684: D1D30317 045F3F9E
	v_max3_f32 v22, |v160|, |v161|, v22                        // 00000000668C: D1D30316 045B43A0
	v_max3_f32 v22, |v162|, |v163|, v22                        // 000000006694: D1D30316 045B47A2
	v_max3_f32 v23, |v164|, |v165|, v23                        // 00000000669C: D1D30317 045F4BA4
	v_max3_f32 v23, |v166|, |v167|, v23                        // 0000000066A4: D1D30317 045F4FA6
	v_max3_f32 v22, |v168|, |v169|, v22                        // 0000000066AC: D1D30316 045B53A8
	v_max3_f32 v22, |v170|, |v171|, v22                        // 0000000066B4: D1D30316 045B57AA
	v_max3_f32 v23, |v172|, |v173|, v23                        // 0000000066BC: D1D30317 045F5BAC
	v_max3_f32 v23, |v174|, |v175|, v23                        // 0000000066C4: D1D30317 045F5FAE
	v_max3_f32 v22, |v176|, |v177|, v22                        // 0000000066CC: D1D30316 045B63B0
	v_max3_f32 v22, |v178|, |v179|, v22                        // 0000000066D4: D1D30316 045B67B2
	v_max3_f32 v23, |v180|, |v181|, v23                        // 0000000066DC: D1D30317 045F6BB4
	v_max3_f32 v23, |v182|, |v183|, v23                        // 0000000066E4: D1D30317 045F6FB6
	v_max3_f32 v22, |v184|, |v185|, v22                        // 0000000066EC: D1D30316 045B73B8
	v_max3_f32 v22, |v186|, |v187|, v22                        // 0000000066F4: D1D30316 045B77BA
	v_max3_f32 v23, |v188|, |v189|, v23                        // 0000000066FC: D1D30317 045F7BBC
	v_max3_f32 v23, |v190|, |v191|, v23                        // 000000006704: D1D30317 045F7FBE
	v_lshlrev_b32_e32 v52, 3, v0                               // 00000000670C: 24680083
	s_mul_i32 s60, 0x200, s7                                   // 000000006710: 923C07FF 00000200
	v_add_u32_e32 v52, s60, v52                                // 000000006718: 6868683C
	ds_write_b64 v52, v[22:23] offset:16640                    // 00000000671C: D89A4100 00001634
	s_waitcnt lgkmcnt(0)                                       // 000000006724: BF8CC07F
	s_barrier                                                  // 000000006728: BF8A0000
	v_and_b32_e32 v52, 15, v0                                  // 00000000672C: 2668008F
	v_lshlrev_b32_e32 v52, 3, v52                              // 000000006730: 24686883
	ds_read_b64 v[96:97], v52 offset:16640                     // 000000006734: D8EC4100 60000034
	ds_read_b64 v[98:99], v52 offset:16768                     // 00000000673C: D8EC4180 62000034
	ds_read_b64 v[100:101], v52 offset:16896                   // 000000006744: D8EC4200 64000034
	ds_read_b64 v[102:103], v52 offset:17024                   // 00000000674C: D8EC4280 66000034
	ds_read_b64 v[104:105], v52 offset:17152                   // 000000006754: D8EC4300 68000034
	ds_read_b64 v[106:107], v52 offset:17280                   // 00000000675C: D8EC4380 6A000034
	ds_read_b64 v[108:109], v52 offset:17408                   // 000000006764: D8EC4400 6C000034
	ds_read_b64 v[110:111], v52 offset:17536                   // 00000000676C: D8EC4480 6E000034
	ds_read_b64 v[112:113], v52 offset:17664                   // 000000006774: D8EC4500 70000034
	ds_read_b64 v[114:115], v52 offset:17792                   // 00000000677C: D8EC4580 72000034
	ds_read_b64 v[116:117], v52 offset:17920                   // 000000006784: D8EC4600 74000034
	ds_read_b64 v[118:119], v52 offset:18048                   // 00000000678C: D8EC4680 76000034
	ds_read_b64 v[120:121], v52 offset:18176                   // 000000006794: D8EC4700 78000034
	ds_read_b64 v[122:123], v52 offset:18304                   // 00000000679C: D8EC4780 7A000034
	ds_read_b64 v[124:125], v52 offset:18432                   // 0000000067A4: D8EC4800 7C000034
	ds_read_b64 v[126:127], v52 offset:18560                   // 0000000067AC: D8EC4880 7E000034
	s_waitcnt lgkmcnt(0)                                       // 0000000067B4: BF8CC07F
	v_max3_f32 v22, |v96|, |v98|, v22                          // 0000000067B8: D1D30316 045AC560
	v_max3_f32 v23, |v97|, |v99|, v23                          // 0000000067C0: D1D30317 045EC761
	v_max3_f32 v22, |v100|, |v102|, v22                        // 0000000067C8: D1D30316 045ACD64
	v_max3_f32 v23, |v101|, |v103|, v23                        // 0000000067D0: D1D30317 045ECF65
	v_max3_f32 v22, |v104|, |v106|, v22                        // 0000000067D8: D1D30316 045AD568
	v_max3_f32 v23, |v105|, |v107|, v23                        // 0000000067E0: D1D30317 045ED769
	v_max3_f32 v22, |v108|, |v110|, v22                        // 0000000067E8: D1D30316 045ADD6C
	v_max3_f32 v23, |v109|, |v111|, v23                        // 0000000067F0: D1D30317 045EDF6D
	v_max3_f32 v22, |v112|, |v114|, v22                        // 0000000067F8: D1D30316 045AE570
	v_max3_f32 v23, |v113|, |v115|, v23                        // 000000006800: D1D30317 045EE771
	v_max3_f32 v22, |v116|, |v118|, v22                        // 000000006808: D1D30316 045AED74
	v_max3_f32 v23, |v117|, |v119|, v23                        // 000000006810: D1D30317 045EEF75
	v_max3_f32 v22, |v120|, |v122|, v22                        // 000000006818: D1D30316 045AF578
	v_max3_f32 v23, |v121|, |v123|, v23                        // 000000006820: D1D30317 045EF779
	v_max3_f32 v22, |v124|, |v126|, v22                        // 000000006828: D1D30316 045AFD7C
	v_max3_f32 v23, |v125|, |v127|, v23                        // 000000006830: D1D30317 045EFF7D
	v_rcp_f32_e32 v22, v22                                     // 000000006838: 7E2C4516
	v_rcp_f32_e32 v23, v23                                     // 00000000683C: 7E2E4517
	v_mov_b32_e32 v52, 0x43e00000                              // 000000006840: 7E6802FF 43E00000
	v_mul_f32_e32 v22, v52, v22                                // 000000006848: 0A2C2D34
	v_mul_f32_e32 v23, v52, v23                                // 00000000684C: 0A2E2F34
	v_mul_f32_e32 v128, v22, v128                              // 000000006850: 0B010116
	v_mul_f32_e32 v129, v22, v129                              // 000000006854: 0B030316
	v_mul_f32_e32 v130, v22, v130                              // 000000006858: 0B050516
	v_mul_f32_e32 v131, v22, v131                              // 00000000685C: 0B070716
	v_cvt_pk_fp8_f32 v128, v128, v129                          // 000000006860: D2A20080 00030380
	v_cvt_pk_fp8_f32 v128, v130, v131 op_sel:[0,0,1]           // 000000006868: D2A24080 00030782
	v_mul_f32_e32 v132, v23, v132                              // 000000006870: 0B090917
	v_mul_f32_e32 v133, v23, v133                              // 000000006874: 0B0B0B17
	v_mul_f32_e32 v134, v23, v134                              // 000000006878: 0B0D0D17
	v_mul_f32_e32 v135, v23, v135                              // 00000000687C: 0B0F0F17
	v_cvt_pk_fp8_f32 v129, v132, v133                          // 000000006880: D2A20081 00030B84
	v_cvt_pk_fp8_f32 v129, v134, v135 op_sel:[0,0,1]           // 000000006888: D2A24081 00030F86
	v_mul_f32_e32 v136, v22, v136                              // 000000006890: 0B111116
	v_mul_f32_e32 v137, v22, v137                              // 000000006894: 0B131316
	v_mul_f32_e32 v138, v22, v138                              // 000000006898: 0B151516
	v_mul_f32_e32 v139, v22, v139                              // 00000000689C: 0B171716
	v_cvt_pk_fp8_f32 v130, v136, v137                          // 0000000068A0: D2A20082 00031388
	v_cvt_pk_fp8_f32 v130, v138, v139 op_sel:[0,0,1]           // 0000000068A8: D2A24082 0003178A
	v_mul_f32_e32 v140, v23, v140                              // 0000000068B0: 0B191917
	v_mul_f32_e32 v141, v23, v141                              // 0000000068B4: 0B1B1B17
	v_mul_f32_e32 v142, v23, v142                              // 0000000068B8: 0B1D1D17
	v_mul_f32_e32 v143, v23, v143                              // 0000000068BC: 0B1F1F17
	v_cvt_pk_fp8_f32 v131, v140, v141                          // 0000000068C0: D2A20083 00031B8C
	v_cvt_pk_fp8_f32 v131, v142, v143 op_sel:[0,0,1]           // 0000000068C8: D2A24083 00031F8E
	v_mul_f32_e32 v144, v22, v144                              // 0000000068D0: 0B212116
	v_mul_f32_e32 v145, v22, v145                              // 0000000068D4: 0B232316
	v_mul_f32_e32 v146, v22, v146                              // 0000000068D8: 0B252516
	v_mul_f32_e32 v147, v22, v147                              // 0000000068DC: 0B272716
	v_cvt_pk_fp8_f32 v132, v144, v145                          // 0000000068E0: D2A20084 00032390
	v_cvt_pk_fp8_f32 v132, v146, v147 op_sel:[0,0,1]           // 0000000068E8: D2A24084 00032792
	v_mul_f32_e32 v148, v23, v148                              // 0000000068F0: 0B292917
	v_mul_f32_e32 v149, v23, v149                              // 0000000068F4: 0B2B2B17
	v_mul_f32_e32 v150, v23, v150                              // 0000000068F8: 0B2D2D17
	v_mul_f32_e32 v151, v23, v151                              // 0000000068FC: 0B2F2F17
	v_cvt_pk_fp8_f32 v133, v148, v149                          // 000000006900: D2A20085 00032B94
	v_cvt_pk_fp8_f32 v133, v150, v151 op_sel:[0,0,1]           // 000000006908: D2A24085 00032F96
	v_mul_f32_e32 v152, v22, v152                              // 000000006910: 0B313116
	v_mul_f32_e32 v153, v22, v153                              // 000000006914: 0B333316
	v_mul_f32_e32 v154, v22, v154                              // 000000006918: 0B353516
	v_mul_f32_e32 v155, v22, v155                              // 00000000691C: 0B373716
	v_cvt_pk_fp8_f32 v134, v152, v153                          // 000000006920: D2A20086 00033398
	v_cvt_pk_fp8_f32 v134, v154, v155 op_sel:[0,0,1]           // 000000006928: D2A24086 0003379A
	v_mul_f32_e32 v156, v23, v156                              // 000000006930: 0B393917
	v_mul_f32_e32 v157, v23, v157                              // 000000006934: 0B3B3B17
	v_mul_f32_e32 v158, v23, v158                              // 000000006938: 0B3D3D17
	v_mul_f32_e32 v159, v23, v159                              // 00000000693C: 0B3F3F17
	v_cvt_pk_fp8_f32 v135, v156, v157                          // 000000006940: D2A20087 00033B9C
	v_cvt_pk_fp8_f32 v135, v158, v159 op_sel:[0,0,1]           // 000000006948: D2A24087 00033F9E
	v_mul_f32_e32 v160, v22, v160                              // 000000006950: 0B414116
	v_mul_f32_e32 v161, v22, v161                              // 000000006954: 0B434316
	v_mul_f32_e32 v162, v22, v162                              // 000000006958: 0B454516
	v_mul_f32_e32 v163, v22, v163                              // 00000000695C: 0B474716
	v_cvt_pk_fp8_f32 v136, v160, v161                          // 000000006960: D2A20088 000343A0
	v_cvt_pk_fp8_f32 v136, v162, v163 op_sel:[0,0,1]           // 000000006968: D2A24088 000347A2
	v_mul_f32_e32 v164, v23, v164                              // 000000006970: 0B494917
	v_mul_f32_e32 v165, v23, v165                              // 000000006974: 0B4B4B17
	v_mul_f32_e32 v166, v23, v166                              // 000000006978: 0B4D4D17
	v_mul_f32_e32 v167, v23, v167                              // 00000000697C: 0B4F4F17
	v_cvt_pk_fp8_f32 v137, v164, v165                          // 000000006980: D2A20089 00034BA4
	v_cvt_pk_fp8_f32 v137, v166, v167 op_sel:[0,0,1]           // 000000006988: D2A24089 00034FA6
	v_mul_f32_e32 v168, v22, v168                              // 000000006990: 0B515116
	v_mul_f32_e32 v169, v22, v169                              // 000000006994: 0B535316
	v_mul_f32_e32 v170, v22, v170                              // 000000006998: 0B555516
	v_mul_f32_e32 v171, v22, v171                              // 00000000699C: 0B575716
	v_cvt_pk_fp8_f32 v138, v168, v169                          // 0000000069A0: D2A2008A 000353A8
	v_cvt_pk_fp8_f32 v138, v170, v171 op_sel:[0,0,1]           // 0000000069A8: D2A2408A 000357AA
	v_mul_f32_e32 v172, v23, v172                              // 0000000069B0: 0B595917
	v_mul_f32_e32 v173, v23, v173                              // 0000000069B4: 0B5B5B17
	v_mul_f32_e32 v174, v23, v174                              // 0000000069B8: 0B5D5D17
	v_mul_f32_e32 v175, v23, v175                              // 0000000069BC: 0B5F5F17
	v_cvt_pk_fp8_f32 v139, v172, v173                          // 0000000069C0: D2A2008B 00035BAC
	v_cvt_pk_fp8_f32 v139, v174, v175 op_sel:[0,0,1]           // 0000000069C8: D2A2408B 00035FAE
	v_mul_f32_e32 v176, v22, v176                              // 0000000069D0: 0B616116
	v_mul_f32_e32 v177, v22, v177                              // 0000000069D4: 0B636316
	v_mul_f32_e32 v178, v22, v178                              // 0000000069D8: 0B656516
	v_mul_f32_e32 v179, v22, v179                              // 0000000069DC: 0B676716
	v_cvt_pk_fp8_f32 v140, v176, v177                          // 0000000069E0: D2A2008C 000363B0
	v_cvt_pk_fp8_f32 v140, v178, v179 op_sel:[0,0,1]           // 0000000069E8: D2A2408C 000367B2
	v_mul_f32_e32 v180, v23, v180                              // 0000000069F0: 0B696917
	v_mul_f32_e32 v181, v23, v181                              // 0000000069F4: 0B6B6B17
	v_mul_f32_e32 v182, v23, v182                              // 0000000069F8: 0B6D6D17
	v_mul_f32_e32 v183, v23, v183                              // 0000000069FC: 0B6F6F17
	v_cvt_pk_fp8_f32 v141, v180, v181                          // 000000006A00: D2A2008D 00036BB4
	v_cvt_pk_fp8_f32 v141, v182, v183 op_sel:[0,0,1]           // 000000006A08: D2A2408D 00036FB6
	v_mul_f32_e32 v184, v22, v184                              // 000000006A10: 0B717116
	v_mul_f32_e32 v185, v22, v185                              // 000000006A14: 0B737316
	v_mul_f32_e32 v186, v22, v186                              // 000000006A18: 0B757516
	v_mul_f32_e32 v187, v22, v187                              // 000000006A1C: 0B777716
	v_cvt_pk_fp8_f32 v142, v184, v185                          // 000000006A20: D2A2008E 000373B8
	v_cvt_pk_fp8_f32 v142, v186, v187 op_sel:[0,0,1]           // 000000006A28: D2A2408E 000377BA
	v_mul_f32_e32 v188, v23, v188                              // 000000006A30: 0B797917
	v_mul_f32_e32 v189, v23, v189                              // 000000006A34: 0B7B7B17
	v_mul_f32_e32 v190, v23, v190                              // 000000006A38: 0B7D7D17
	v_mul_f32_e32 v191, v23, v191                              // 000000006A3C: 0B7F7F17
	v_cvt_pk_fp8_f32 v143, v188, v189                          // 000000006A40: D2A2008F 00037BBC
	v_cvt_pk_fp8_f32 v143, v190, v191 op_sel:[0,0,1]           // 000000006A48: D2A2408F 00037FBE
	v_rcp_f32_e32 v24, v22                                     // 000000006A50: 7E304516
	v_rcp_f32_e32 v25, v23                                     // 000000006A54: 7E324517
	v_lshrrev_b32_e32 v52, 5, v0                               // 000000006A58: 20680085
	v_lshlrev_b32_e32 v53, 5, v52                              // 000000006A5C: 246A6885
	v_and_b32_e32 v52, 31, v0                                  // 000000006A60: 2668009F
	v_lshrrev_b32_e32 v54, 4, v52                              // 000000006A64: 206C6884
	v_add_u32_e32 v53, v54, v53                                // 000000006A68: 686A6B36
	v_and_b32_e32 v52, 15, v0                                  // 000000006A6C: 2668008F
	v_lshlrev_b32_e32 v52, 1, v52                              // 000000006A70: 24686881
	v_add_u32_e32 v53, v52, v53                                // 000000006A74: 686A6B34
	v_lshlrev_b32_e32 v52, 2, v53                              // 000000006A78: 24686A82
	s_mul_i32 s60, 0x100, s7                                   // 000000006A7C: 923C07FF 00000100
	v_add_u32_e64 v52, v52, s60                                // 000000006A84: D1340034 00007934
	ds_write_b32 v52, v128 offset:18688                        // 000000006A8C: D81A4900 00008034
	ds_write_b32 v52, v129 offset:26880                        // 000000006A94: D81A6900 00008134
	ds_write_b32 v52, v130 offset:19712                        // 000000006A9C: D81A4D00 00008234
	ds_write_b32 v52, v131 offset:27904                        // 000000006AA4: D81A6D00 00008334
	ds_write_b32 v52, v132 offset:20736                        // 000000006AAC: D81A5100 00008434
	ds_write_b32 v52, v133 offset:28928                        // 000000006AB4: D81A7100 00008534
	ds_write_b32 v52, v134 offset:21760                        // 000000006ABC: D81A5500 00008634
	ds_write_b32 v52, v135 offset:29952                        // 000000006AC4: D81A7500 00008734
	ds_write_b32 v52, v136 offset:22784                        // 000000006ACC: D81A5900 00008834
	ds_write_b32 v52, v137 offset:30976                        // 000000006AD4: D81A7900 00008934
	ds_write_b32 v52, v138 offset:23808                        // 000000006ADC: D81A5D00 00008A34
	ds_write_b32 v52, v139 offset:32000                        // 000000006AE4: D81A7D00 00008B34
	ds_write_b32 v52, v140 offset:24832                        // 000000006AEC: D81A6100 00008C34
	ds_write_b32 v52, v141 offset:33024                        // 000000006AF4: D81A8100 00008D34
	ds_write_b32 v52, v142 offset:25856                        // 000000006AFC: D81A6500 00008E34
	ds_write_b32 v52, v143 offset:34048                        // 000000006B04: D81A8500 00008F34
	s_waitcnt lgkmcnt(0)                                       // 000000006B0C: BF8CC07F
	s_barrier                                                  // 000000006B10: BF8A0000
	v_lshrrev_b32_e32 v52, 4, v0                               // 000000006B14: 20680084
	v_lshlrev_b32_e32 v53, 6, v52                              // 000000006B18: 246A6886
	v_and_b32_e32 v52, 15, v0                                  // 000000006B1C: 2668008F
	v_lshlrev_b32_e32 v52, 1, v52                              // 000000006B20: 24686881
	v_add_u32_e32 v53, v52, v53                                // 000000006B24: 686A6B34
	v_lshlrev_b32_e32 v52, 2, v53                              // 000000006B28: 24686A82
	ds_read_b64 v[128:129], v52 offset:18688                   // 000000006B2C: D8EC4900 80000034
	ds_read_b64 v[130:131], v52 offset:18816                   // 000000006B34: D8EC4980 82000034
	ds_read_b64 v[132:133], v52 offset:19712                   // 000000006B3C: D8EC4D00 84000034
	ds_read_b64 v[134:135], v52 offset:19840                   // 000000006B44: D8EC4D80 86000034
	ds_read_b64 v[136:137], v52 offset:20736                   // 000000006B4C: D8EC5100 88000034
	ds_read_b64 v[138:139], v52 offset:20864                   // 000000006B54: D8EC5180 8A000034
	ds_read_b64 v[140:141], v52 offset:21760                   // 000000006B5C: D8EC5500 8C000034
	ds_read_b64 v[142:143], v52 offset:21888                   // 000000006B64: D8EC5580 8E000034
	ds_read_b64 v[144:145], v52 offset:22784                   // 000000006B6C: D8EC5900 90000034
	ds_read_b64 v[146:147], v52 offset:22912                   // 000000006B74: D8EC5980 92000034
	ds_read_b64 v[148:149], v52 offset:23808                   // 000000006B7C: D8EC5D00 94000034
	ds_read_b64 v[150:151], v52 offset:23936                   // 000000006B84: D8EC5D80 96000034
	ds_read_b64 v[152:153], v52 offset:24832                   // 000000006B8C: D8EC6100 98000034
	ds_read_b64 v[154:155], v52 offset:24960                   // 000000006B94: D8EC6180 9A000034
	ds_read_b64 v[156:157], v52 offset:25856                   // 000000006B9C: D8EC6500 9C000034
	ds_read_b64 v[158:159], v52 offset:25984                   // 000000006BA4: D8EC6580 9E000034
	ds_read_b64 v[160:161], v52 offset:26880                   // 000000006BAC: D8EC6900 A0000034
	ds_read_b64 v[162:163], v52 offset:27008                   // 000000006BB4: D8EC6980 A2000034
	ds_read_b64 v[164:165], v52 offset:27904                   // 000000006BBC: D8EC6D00 A4000034
	ds_read_b64 v[166:167], v52 offset:28032                   // 000000006BC4: D8EC6D80 A6000034
	ds_read_b64 v[168:169], v52 offset:28928                   // 000000006BCC: D8EC7100 A8000034
	ds_read_b64 v[170:171], v52 offset:29056                   // 000000006BD4: D8EC7180 AA000034
	ds_read_b64 v[172:173], v52 offset:29952                   // 000000006BDC: D8EC7500 AC000034
	ds_read_b64 v[174:175], v52 offset:30080                   // 000000006BE4: D8EC7580 AE000034
	ds_read_b64 v[176:177], v52 offset:30976                   // 000000006BEC: D8EC7900 B0000034
	ds_read_b64 v[178:179], v52 offset:31104                   // 000000006BF4: D8EC7980 B2000034
	ds_read_b64 v[180:181], v52 offset:32000                   // 000000006BFC: D8EC7D00 B4000034
	ds_read_b64 v[182:183], v52 offset:32128                   // 000000006C04: D8EC7D80 B6000034
	ds_read_b64 v[184:185], v52 offset:33024                   // 000000006C0C: D8EC8100 B8000034
	ds_read_b64 v[186:187], v52 offset:33152                   // 000000006C14: D8EC8180 BA000034
	ds_read_b64 v[188:189], v52 offset:34048                   // 000000006C1C: D8EC8500 BC000034
	ds_read_b64 v[190:191], v52 offset:34176                   // 000000006C24: D8EC8580 BE000034
	s_add_u32 s12, s56, s12                                    // 000000006C2C: 800C0C38
	s_addc_u32 s13, 0, s13                                     // 000000006C30: 820D0D80
	s_add_u32 s16, s79, s16                                    // 000000006C34: 8010104F
	s_addc_u32 s17, 0, s17                                     // 000000006C38: 82111180
	s_mov_b32 s80, 0                                           // 000000006C3C: BED00080
	s_waitcnt vmcnt(0) expcnt(0) lgkmcnt(0)                    // 000000006C40: BF8C0000

0000000000006c44 <label_0F91>:
	s_waitcnt vmcnt(45)                                        // 000000006C44: BF8C8F7D
	s_barrier                                                  // 000000006C48: BF8A0000
	v_mfma_f32_16x16x32_fp8_fp8 v[192:195], a[0:1], v[128:129], 0// 000000006C4C: D3F300C0 0A030100
	v_mfma_f32_16x16x32_fp8_fp8 v[192:195], a[2:3], v[130:131], v[192:195]// 000000006C54: D3F300C0 0F030502
	buffer_load_dwordx4 a[128:131], v42, s[12:15], 0 offen     // 000000006C5C: E05C1000 8083802A
	v_mfma_f32_16x16x32_fp8_fp8 v[196:199], a[0:1], v[160:161], 0// 000000006C64: D3F300C4 0A034100
	v_mfma_f32_16x16x32_fp8_fp8 v[196:199], a[2:3], v[162:163], v[196:199]// 000000006C6C: D3F300C4 0F134502
	v_mfma_f32_16x16x32_fp8_fp8 v[200:203], a[4:5], v[128:129], 0// 000000006C74: D3F300C8 0A030104
	v_mfma_f32_16x16x32_fp8_fp8 v[200:203], a[6:7], v[130:131], v[200:203]// 000000006C7C: D3F300C8 0F230506
	buffer_load_dwordx4 a[132:135], v43, s[12:15], 0 offen     // 000000006C84: E05C1000 8083842B
	v_mfma_f32_16x16x32_fp8_fp8 v[204:207], a[4:5], v[160:161], 0// 000000006C8C: D3F300CC 0A034104
	v_mfma_f32_16x16x32_fp8_fp8 v[204:207], a[6:7], v[162:163], v[204:207]// 000000006C94: D3F300CC 0F334506
	v_mfma_f32_16x16x32_fp8_fp8 v[208:211], a[8:9], v[128:129], 0// 000000006C9C: D3F300D0 0A030108
	v_mfma_f32_16x16x32_fp8_fp8 v[208:211], a[10:11], v[130:131], v[208:211]// 000000006CA4: D3F300D0 0F43050A
	buffer_load_dwordx4 a[136:139], v44, s[12:15], 0 offen     // 000000006CAC: E05C1000 8083882C
	v_mfma_f32_16x16x32_fp8_fp8 v[212:215], a[8:9], v[160:161], 0// 000000006CB4: D3F300D4 0A034108
	v_mfma_f32_16x16x32_fp8_fp8 v[212:215], a[10:11], v[162:163], v[212:215]// 000000006CBC: D3F300D4 0F53450A
	v_mfma_f32_16x16x32_fp8_fp8 v[216:219], a[12:13], v[128:129], 0// 000000006CC4: D3F300D8 0A03010C
	v_mfma_f32_16x16x32_fp8_fp8 v[216:219], a[14:15], v[130:131], v[216:219]// 000000006CCC: D3F300D8 0F63050E
	buffer_load_dwordx4 a[140:143], v45, s[12:15], 0 offen     // 000000006CD4: E05C1000 80838C2D
	s_add_u32 s12, s78, s12                                    // 000000006CDC: 800C0C4E
	s_addc_u32 s13, 0, s13                                     // 000000006CE0: 820D0D80
	v_mfma_f32_16x16x32_fp8_fp8 v[220:223], a[12:13], v[160:161], 0// 000000006CE4: D3F300DC 0A03410C
	v_mfma_f32_16x16x32_fp8_fp8 v[220:223], a[14:15], v[162:163], v[220:223]// 000000006CEC: D3F300DC 0F73450E
	s_waitcnt vmcnt(45)                                        // 000000006CF4: BF8C8F7D
	v_mfma_f32_16x16x32_fp8_fp8 v[192:195], a[16:17], v[132:133], v[192:195]// 000000006CF8: D3F300C0 0F030910
	v_mfma_f32_16x16x32_fp8_fp8 v[192:195], a[18:19], v[134:135], v[192:195]// 000000006D00: D3F300C0 0F030D12
	buffer_load_dwordx4 a[144:147], v42, s[12:15], 0 offen     // 000000006D08: E05C1000 8083902A
	v_mfma_f32_16x16x32_fp8_fp8 v[196:199], a[16:17], v[164:165], v[196:199]// 000000006D10: D3F300C4 0F134910
	v_mfma_f32_16x16x32_fp8_fp8 v[196:199], a[18:19], v[166:167], v[196:199]// 000000006D18: D3F300C4 0F134D12
	v_mfma_f32_16x16x32_fp8_fp8 v[200:203], a[20:21], v[132:133], v[200:203]// 000000006D20: D3F300C8 0F230914
	v_mfma_f32_16x16x32_fp8_fp8 v[200:203], a[22:23], v[134:135], v[200:203]// 000000006D28: D3F300C8 0F230D16
	buffer_load_dwordx4 a[148:151], v43, s[12:15], 0 offen     // 000000006D30: E05C1000 8083942B
	v_mfma_f32_16x16x32_fp8_fp8 v[204:207], a[20:21], v[164:165], v[204:207]// 000000006D38: D3F300CC 0F334914
	v_mfma_f32_16x16x32_fp8_fp8 v[204:207], a[22:23], v[166:167], v[204:207]// 000000006D40: D3F300CC 0F334D16
	v_mfma_f32_16x16x32_fp8_fp8 v[208:211], a[24:25], v[132:133], v[208:211]// 000000006D48: D3F300D0 0F430918
	v_mfma_f32_16x16x32_fp8_fp8 v[208:211], a[26:27], v[134:135], v[208:211]// 000000006D50: D3F300D0 0F430D1A
	buffer_load_dwordx4 a[152:155], v44, s[12:15], 0 offen     // 000000006D58: E05C1000 8083982C
	v_mfma_f32_16x16x32_fp8_fp8 v[212:215], a[24:25], v[164:165], v[212:215]// 000000006D60: D3F300D4 0F534918
	v_mfma_f32_16x16x32_fp8_fp8 v[212:215], a[26:27], v[166:167], v[212:215]// 000000006D68: D3F300D4 0F534D1A
	v_mfma_f32_16x16x32_fp8_fp8 v[216:219], a[28:29], v[132:133], v[216:219]// 000000006D70: D3F300D8 0F63091C
	v_mfma_f32_16x16x32_fp8_fp8 v[216:219], a[30:31], v[134:135], v[216:219]// 000000006D78: D3F300D8 0F630D1E
	buffer_load_dwordx4 a[156:159], v45, s[12:15], 0 offen     // 000000006D80: E05C1000 80839C2D
	s_add_u32 s12, s78, s12                                    // 000000006D88: 800C0C4E
	s_addc_u32 s13, 0, s13                                     // 000000006D8C: 820D0D80
	v_mfma_f32_16x16x32_fp8_fp8 v[220:223], a[28:29], v[164:165], v[220:223]// 000000006D90: D3F300DC 0F73491C
	v_mfma_f32_16x16x32_fp8_fp8 v[220:223], a[30:31], v[166:167], v[220:223]// 000000006D98: D3F300DC 0F734D1E
	s_waitcnt vmcnt(45)                                        // 000000006DA0: BF8C8F7D
	v_mfma_f32_16x16x32_fp8_fp8 v[192:195], a[32:33], v[136:137], v[192:195]// 000000006DA4: D3F300C0 0F031120
	v_mfma_f32_16x16x32_fp8_fp8 v[192:195], a[34:35], v[138:139], v[192:195]// 000000006DAC: D3F300C0 0F031522
	buffer_load_dwordx4 a[160:163], v42, s[12:15], 0 offen     // 000000006DB4: E05C1000 8083A02A
	v_mfma_f32_16x16x32_fp8_fp8 v[196:199], a[32:33], v[168:169], v[196:199]// 000000006DBC: D3F300C4 0F135120
	v_mfma_f32_16x16x32_fp8_fp8 v[196:199], a[34:35], v[170:171], v[196:199]// 000000006DC4: D3F300C4 0F135522
	v_mfma_f32_16x16x32_fp8_fp8 v[200:203], a[36:37], v[136:137], v[200:203]// 000000006DCC: D3F300C8 0F231124
	v_mfma_f32_16x16x32_fp8_fp8 v[200:203], a[38:39], v[138:139], v[200:203]// 000000006DD4: D3F300C8 0F231526
	buffer_load_dwordx4 a[164:167], v43, s[12:15], 0 offen     // 000000006DDC: E05C1000 8083A42B
	v_mfma_f32_16x16x32_fp8_fp8 v[204:207], a[36:37], v[168:169], v[204:207]// 000000006DE4: D3F300CC 0F335124
	v_mfma_f32_16x16x32_fp8_fp8 v[204:207], a[38:39], v[170:171], v[204:207]// 000000006DEC: D3F300CC 0F335526
	v_mfma_f32_16x16x32_fp8_fp8 v[208:211], a[40:41], v[136:137], v[208:211]// 000000006DF4: D3F300D0 0F431128
	v_mfma_f32_16x16x32_fp8_fp8 v[208:211], a[42:43], v[138:139], v[208:211]// 000000006DFC: D3F300D0 0F43152A
	buffer_load_dwordx4 a[168:171], v44, s[12:15], 0 offen     // 000000006E04: E05C1000 8083A82C
	v_mfma_f32_16x16x32_fp8_fp8 v[212:215], a[40:41], v[168:169], v[212:215]// 000000006E0C: D3F300D4 0F535128
	v_mfma_f32_16x16x32_fp8_fp8 v[212:215], a[42:43], v[170:171], v[212:215]// 000000006E14: D3F300D4 0F53552A
	v_mfma_f32_16x16x32_fp8_fp8 v[216:219], a[44:45], v[136:137], v[216:219]// 000000006E1C: D3F300D8 0F63112C
	v_mfma_f32_16x16x32_fp8_fp8 v[216:219], a[46:47], v[138:139], v[216:219]// 000000006E24: D3F300D8 0F63152E
	buffer_load_dwordx4 a[172:175], v45, s[12:15], 0 offen     // 000000006E2C: E05C1000 8083AC2D
	s_add_u32 s12, s78, s12                                    // 000000006E34: 800C0C4E
	s_addc_u32 s13, 0, s13                                     // 000000006E38: 820D0D80
	v_mfma_f32_16x16x32_fp8_fp8 v[220:223], a[44:45], v[168:169], v[220:223]// 000000006E3C: D3F300DC 0F73512C
	v_mfma_f32_16x16x32_fp8_fp8 v[220:223], a[46:47], v[170:171], v[220:223]// 000000006E44: D3F300DC 0F73552E
	s_waitcnt vmcnt(45)                                        // 000000006E4C: BF8C8F7D
	v_mfma_f32_16x16x32_fp8_fp8 v[192:195], a[48:49], v[140:141], v[192:195]// 000000006E50: D3F300C0 0F031930
	v_mfma_f32_16x16x32_fp8_fp8 v[192:195], a[50:51], v[142:143], v[192:195]// 000000006E58: D3F300C0 0F031D32
	buffer_load_dwordx4 a[176:179], v42, s[12:15], 0 offen     // 000000006E60: E05C1000 8083B02A
	v_mfma_f32_16x16x32_fp8_fp8 v[196:199], a[48:49], v[172:173], v[196:199]// 000000006E68: D3F300C4 0F135930
	v_mfma_f32_16x16x32_fp8_fp8 v[196:199], a[50:51], v[174:175], v[196:199]// 000000006E70: D3F300C4 0F135D32
	v_mfma_f32_16x16x32_fp8_fp8 v[200:203], a[52:53], v[140:141], v[200:203]// 000000006E78: D3F300C8 0F231934
	v_mfma_f32_16x16x32_fp8_fp8 v[200:203], a[54:55], v[142:143], v[200:203]// 000000006E80: D3F300C8 0F231D36
	buffer_load_dwordx4 a[180:183], v43, s[12:15], 0 offen     // 000000006E88: E05C1000 8083B42B
	v_mfma_f32_16x16x32_fp8_fp8 v[204:207], a[52:53], v[172:173], v[204:207]// 000000006E90: D3F300CC 0F335934
	v_mfma_f32_16x16x32_fp8_fp8 v[204:207], a[54:55], v[174:175], v[204:207]// 000000006E98: D3F300CC 0F335D36
	v_mfma_f32_16x16x32_fp8_fp8 v[208:211], a[56:57], v[140:141], v[208:211]// 000000006EA0: D3F300D0 0F431938
	v_mfma_f32_16x16x32_fp8_fp8 v[208:211], a[58:59], v[142:143], v[208:211]// 000000006EA8: D3F300D0 0F431D3A
	buffer_load_dwordx4 a[184:187], v44, s[12:15], 0 offen     // 000000006EB0: E05C1000 8083B82C
	v_mfma_f32_16x16x32_fp8_fp8 v[212:215], a[56:57], v[172:173], v[212:215]// 000000006EB8: D3F300D4 0F535938
	v_mfma_f32_16x16x32_fp8_fp8 v[212:215], a[58:59], v[174:175], v[212:215]// 000000006EC0: D3F300D4 0F535D3A
	v_mfma_f32_16x16x32_fp8_fp8 v[216:219], a[60:61], v[140:141], v[216:219]// 000000006EC8: D3F300D8 0F63193C
	v_mfma_f32_16x16x32_fp8_fp8 v[216:219], a[62:63], v[142:143], v[216:219]// 000000006ED0: D3F300D8 0F631D3E
	buffer_load_dwordx4 a[188:191], v45, s[12:15], 0 offen     // 000000006ED8: E05C1000 8083BC2D
	s_add_u32 s12, s78, s12                                    // 000000006EE0: 800C0C4E
	s_addc_u32 s13, 0, s13                                     // 000000006EE4: 820D0D80
	v_mfma_f32_16x16x32_fp8_fp8 v[220:223], a[60:61], v[172:173], v[220:223]// 000000006EE8: D3F300DC 0F73593C
	v_mfma_f32_16x16x32_fp8_fp8 v[220:223], a[62:63], v[174:175], v[220:223]// 000000006EF0: D3F300DC 0F735D3E
	s_waitcnt vmcnt(45)                                        // 000000006EF8: BF8C8F7D
	v_mfma_f32_16x16x32_fp8_fp8 v[192:195], a[64:65], v[144:145], v[192:195]// 000000006EFC: D3F300C0 0F032140
	v_mfma_f32_16x16x32_fp8_fp8 v[192:195], a[66:67], v[146:147], v[192:195]// 000000006F04: D3F300C0 0F032542
	buffer_load_dwordx4 a[192:195], v42, s[12:15], 0 offen     // 000000006F0C: E05C1000 8083C02A
	v_mfma_f32_16x16x32_fp8_fp8 v[196:199], a[64:65], v[176:177], v[196:199]// 000000006F14: D3F300C4 0F136140
	v_mfma_f32_16x16x32_fp8_fp8 v[196:199], a[66:67], v[178:179], v[196:199]// 000000006F1C: D3F300C4 0F136542
	v_mfma_f32_16x16x32_fp8_fp8 v[200:203], a[68:69], v[144:145], v[200:203]// 000000006F24: D3F300C8 0F232144
	v_mfma_f32_16x16x32_fp8_fp8 v[200:203], a[70:71], v[146:147], v[200:203]// 000000006F2C: D3F300C8 0F232546
	buffer_load_dwordx4 a[196:199], v43, s[12:15], 0 offen     // 000000006F34: E05C1000 8083C42B
	v_mfma_f32_16x16x32_fp8_fp8 v[204:207], a[68:69], v[176:177], v[204:207]// 000000006F3C: D3F300CC 0F336144
	v_mfma_f32_16x16x32_fp8_fp8 v[204:207], a[70:71], v[178:179], v[204:207]// 000000006F44: D3F300CC 0F336546
	v_mfma_f32_16x16x32_fp8_fp8 v[208:211], a[72:73], v[144:145], v[208:211]// 000000006F4C: D3F300D0 0F432148
	v_mfma_f32_16x16x32_fp8_fp8 v[208:211], a[74:75], v[146:147], v[208:211]// 000000006F54: D3F300D0 0F43254A
	buffer_load_dwordx4 a[200:203], v44, s[12:15], 0 offen     // 000000006F5C: E05C1000 8083C82C
	v_mfma_f32_16x16x32_fp8_fp8 v[212:215], a[72:73], v[176:177], v[212:215]// 000000006F64: D3F300D4 0F536148
	v_mfma_f32_16x16x32_fp8_fp8 v[212:215], a[74:75], v[178:179], v[212:215]// 000000006F6C: D3F300D4 0F53654A
	v_mfma_f32_16x16x32_fp8_fp8 v[216:219], a[76:77], v[144:145], v[216:219]// 000000006F74: D3F300D8 0F63214C
	v_mfma_f32_16x16x32_fp8_fp8 v[216:219], a[78:79], v[146:147], v[216:219]// 000000006F7C: D3F300D8 0F63254E
	buffer_load_dwordx4 a[204:207], v45, s[12:15], 0 offen     // 000000006F84: E05C1000 8083CC2D
	s_add_u32 s12, s78, s12                                    // 000000006F8C: 800C0C4E
	s_addc_u32 s13, 0, s13                                     // 000000006F90: 820D0D80
	v_mfma_f32_16x16x32_fp8_fp8 v[220:223], a[76:77], v[176:177], v[220:223]// 000000006F94: D3F300DC 0F73614C
	v_mfma_f32_16x16x32_fp8_fp8 v[220:223], a[78:79], v[178:179], v[220:223]// 000000006F9C: D3F300DC 0F73654E
	s_waitcnt vmcnt(45)                                        // 000000006FA4: BF8C8F7D
	v_mfma_f32_16x16x32_fp8_fp8 v[192:195], a[80:81], v[148:149], v[192:195]// 000000006FA8: D3F300C0 0F032950
	v_mfma_f32_16x16x32_fp8_fp8 v[192:195], a[82:83], v[150:151], v[192:195]// 000000006FB0: D3F300C0 0F032D52
	buffer_load_dwordx4 a[208:211], v42, s[12:15], 0 offen     // 000000006FB8: E05C1000 8083D02A
	v_mfma_f32_16x16x32_fp8_fp8 v[196:199], a[80:81], v[180:181], v[196:199]// 000000006FC0: D3F300C4 0F136950
	v_mfma_f32_16x16x32_fp8_fp8 v[196:199], a[82:83], v[182:183], v[196:199]// 000000006FC8: D3F300C4 0F136D52
	v_mfma_f32_16x16x32_fp8_fp8 v[200:203], a[84:85], v[148:149], v[200:203]// 000000006FD0: D3F300C8 0F232954
	v_mfma_f32_16x16x32_fp8_fp8 v[200:203], a[86:87], v[150:151], v[200:203]// 000000006FD8: D3F300C8 0F232D56
	buffer_load_dwordx4 a[212:215], v43, s[12:15], 0 offen     // 000000006FE0: E05C1000 8083D42B
	v_mfma_f32_16x16x32_fp8_fp8 v[204:207], a[84:85], v[180:181], v[204:207]// 000000006FE8: D3F300CC 0F336954
	v_mfma_f32_16x16x32_fp8_fp8 v[204:207], a[86:87], v[182:183], v[204:207]// 000000006FF0: D3F300CC 0F336D56
	v_mfma_f32_16x16x32_fp8_fp8 v[208:211], a[88:89], v[148:149], v[208:211]// 000000006FF8: D3F300D0 0F432958
	v_mfma_f32_16x16x32_fp8_fp8 v[208:211], a[90:91], v[150:151], v[208:211]// 000000007000: D3F300D0 0F432D5A
	buffer_load_dwordx4 a[216:219], v44, s[12:15], 0 offen     // 000000007008: E05C1000 8083D82C
	v_mfma_f32_16x16x32_fp8_fp8 v[212:215], a[88:89], v[180:181], v[212:215]// 000000007010: D3F300D4 0F536958
	v_mfma_f32_16x16x32_fp8_fp8 v[212:215], a[90:91], v[182:183], v[212:215]// 000000007018: D3F300D4 0F536D5A
	v_mfma_f32_16x16x32_fp8_fp8 v[216:219], a[92:93], v[148:149], v[216:219]// 000000007020: D3F300D8 0F63295C
	v_mfma_f32_16x16x32_fp8_fp8 v[216:219], a[94:95], v[150:151], v[216:219]// 000000007028: D3F300D8 0F632D5E
	buffer_load_dwordx4 a[220:223], v45, s[12:15], 0 offen     // 000000007030: E05C1000 8083DC2D
	s_add_u32 s12, s78, s12                                    // 000000007038: 800C0C4E
	s_addc_u32 s13, 0, s13                                     // 00000000703C: 820D0D80
	v_mfma_f32_16x16x32_fp8_fp8 v[220:223], a[92:93], v[180:181], v[220:223]// 000000007040: D3F300DC 0F73695C
	v_mfma_f32_16x16x32_fp8_fp8 v[220:223], a[94:95], v[182:183], v[220:223]// 000000007048: D3F300DC 0F736D5E
	s_waitcnt vmcnt(45)                                        // 000000007050: BF8C8F7D
	v_mfma_f32_16x16x32_fp8_fp8 v[192:195], a[96:97], v[152:153], v[192:195]// 000000007054: D3F300C0 0F033160
	v_mfma_f32_16x16x32_fp8_fp8 v[192:195], a[98:99], v[154:155], v[192:195]// 00000000705C: D3F300C0 0F033562
	buffer_load_dwordx4 a[224:227], v42, s[12:15], 0 offen     // 000000007064: E05C1000 8083E02A
	v_mfma_f32_16x16x32_fp8_fp8 v[196:199], a[96:97], v[184:185], v[196:199]// 00000000706C: D3F300C4 0F137160
	v_mfma_f32_16x16x32_fp8_fp8 v[196:199], a[98:99], v[186:187], v[196:199]// 000000007074: D3F300C4 0F137562
	v_mfma_f32_16x16x32_fp8_fp8 v[200:203], a[100:101], v[152:153], v[200:203]// 00000000707C: D3F300C8 0F233164
	v_mfma_f32_16x16x32_fp8_fp8 v[200:203], a[102:103], v[154:155], v[200:203]// 000000007084: D3F300C8 0F233566
	buffer_load_dwordx4 a[228:231], v43, s[12:15], 0 offen     // 00000000708C: E05C1000 8083E42B
	v_mfma_f32_16x16x32_fp8_fp8 v[204:207], a[100:101], v[184:185], v[204:207]// 000000007094: D3F300CC 0F337164
	v_mfma_f32_16x16x32_fp8_fp8 v[204:207], a[102:103], v[186:187], v[204:207]// 00000000709C: D3F300CC 0F337566
	v_mfma_f32_16x16x32_fp8_fp8 v[208:211], a[104:105], v[152:153], v[208:211]// 0000000070A4: D3F300D0 0F433168
	v_mfma_f32_16x16x32_fp8_fp8 v[208:211], a[106:107], v[154:155], v[208:211]// 0000000070AC: D3F300D0 0F43356A
	buffer_load_dwordx4 a[232:235], v44, s[12:15], 0 offen     // 0000000070B4: E05C1000 8083E82C
	v_mfma_f32_16x16x32_fp8_fp8 v[212:215], a[104:105], v[184:185], v[212:215]// 0000000070BC: D3F300D4 0F537168
	v_mfma_f32_16x16x32_fp8_fp8 v[212:215], a[106:107], v[186:187], v[212:215]// 0000000070C4: D3F300D4 0F53756A
	v_mfma_f32_16x16x32_fp8_fp8 v[216:219], a[108:109], v[152:153], v[216:219]// 0000000070CC: D3F300D8 0F63316C
	v_mfma_f32_16x16x32_fp8_fp8 v[216:219], a[110:111], v[154:155], v[216:219]// 0000000070D4: D3F300D8 0F63356E
	buffer_load_dwordx4 a[236:239], v45, s[12:15], 0 offen     // 0000000070DC: E05C1000 8083EC2D
	s_add_u32 s12, s78, s12                                    // 0000000070E4: 800C0C4E
	s_addc_u32 s13, 0, s13                                     // 0000000070E8: 820D0D80
	v_mfma_f32_16x16x32_fp8_fp8 v[220:223], a[108:109], v[184:185], v[220:223]// 0000000070EC: D3F300DC 0F73716C
	v_mfma_f32_16x16x32_fp8_fp8 v[220:223], a[110:111], v[186:187], v[220:223]// 0000000070F4: D3F300DC 0F73756E
	s_waitcnt vmcnt(44)                                        // 0000000070FC: BF8C8F7C
	v_mfma_f32_16x16x32_fp8_fp8 v[192:195], a[112:113], v[156:157], v[192:195]// 000000007100: D3F300C0 0F033970
	v_mfma_f32_16x16x32_fp8_fp8 v[192:195], a[114:115], v[158:159], v[192:195]// 000000007108: D3F300C0 0F033D72
	buffer_load_dwordx4 a[240:243], v42, s[12:15], 0 offen     // 000000007110: E05C1000 8083F02A
	v_mfma_f32_16x16x32_fp8_fp8 v[196:199], a[112:113], v[188:189], v[196:199]// 000000007118: D3F300C4 0F137970
	v_mfma_f32_16x16x32_fp8_fp8 v[196:199], a[114:115], v[190:191], v[196:199]// 000000007120: D3F300C4 0F137D72
	buffer_load_dword v13, v5, s[16:19], 0 offen               // 000000007128: E0501000 80040D05
	v_mfma_f32_16x16x32_fp8_fp8 v[200:203], a[116:117], v[156:157], v[200:203]// 000000007130: D3F300C8 0F233974
	v_mfma_f32_16x16x32_fp8_fp8 v[200:203], a[118:119], v[158:159], v[200:203]// 000000007138: D3F300C8 0F233D76
	buffer_load_dwordx4 a[244:247], v43, s[12:15], 0 offen     // 000000007140: E05C1000 8083F42B
	v_mfma_f32_16x16x32_fp8_fp8 v[204:207], a[116:117], v[188:189], v[204:207]// 000000007148: D3F300CC 0F337974
	v_mfma_f32_16x16x32_fp8_fp8 v[204:207], a[118:119], v[190:191], v[204:207]// 000000007150: D3F300CC 0F337D76
	v_mfma_f32_16x16x32_fp8_fp8 v[208:211], a[120:121], v[156:157], v[208:211]// 000000007158: D3F300D0 0F433978
	v_mfma_f32_16x16x32_fp8_fp8 v[208:211], a[122:123], v[158:159], v[208:211]// 000000007160: D3F300D0 0F433D7A
	buffer_load_dwordx4 a[248:251], v44, s[12:15], 0 offen     // 000000007168: E05C1000 8083F82C
	v_mfma_f32_16x16x32_fp8_fp8 v[212:215], a[120:121], v[188:189], v[212:215]// 000000007170: D3F300D4 0F537978
	v_mfma_f32_16x16x32_fp8_fp8 v[212:215], a[122:123], v[190:191], v[212:215]// 000000007178: D3F300D4 0F537D7A
	v_mfma_f32_16x16x32_fp8_fp8 v[216:219], a[124:125], v[156:157], v[216:219]// 000000007180: D3F300D8 0F63397C
	v_mfma_f32_16x16x32_fp8_fp8 v[216:219], a[126:127], v[158:159], v[216:219]// 000000007188: D3F300D8 0F633D7E
	buffer_load_dwordx4 a[252:255], v45, s[12:15], 0 offen     // 000000007190: E05C1000 8083FC2D
	v_mfma_f32_16x16x32_fp8_fp8 v[220:223], a[124:125], v[188:189], v[220:223]// 000000007198: D3F300DC 0F73797C
	v_mfma_f32_16x16x32_fp8_fp8 v[220:223], a[126:127], v[190:191], v[220:223]// 0000000071A0: D3F300DC 0F737D7E
	s_add_u32 s60, 0x200, s80                                  // 0000000071A8: 803C50FF 00000200
	s_cmp_lt_u32 s60, s81                                      // 0000000071B0: BF0A513C
	s_cselect_b32 s56, s56, 0                                  // 0000000071B4: 85388038
	s_cselect_b32 s78, s78, 0                                  // 0000000071B8: 854E804E
	s_cselect_b32 s79, s79, 0                                  // 0000000071BC: 854F804F
	s_add_u32 s12, s56, s12                                    // 0000000071C0: 800C0C38
	s_addc_u32 s13, 0, s13                                     // 0000000071C4: 820D0D80
	s_add_u32 s16, s79, s16                                    // 0000000071C8: 8010104F
	s_addc_u32 s17, 0, s17                                     // 0000000071CC: 82111180
	v_mul_f32_e32 v192, v24, v192                              // 0000000071D0: 0B818118
	v_mul_f32_e32 v193, v24, v193                              // 0000000071D4: 0B838318
	v_mul_f32_e32 v194, v24, v194                              // 0000000071D8: 0B858518
	v_mul_f32_e32 v195, v24, v195                              // 0000000071DC: 0B878718
	v_mul_f32_dpp v192, v12, v192 row_newbcast:0 row_mask:0xf bank_mask:0xf// 0000000071E0: 0B8180FA FF01500C
	v_mul_f32_dpp v193, v12, v193 row_newbcast:1 row_mask:0xf bank_mask:0xf// 0000000071E8: 0B8382FA FF01510C
	v_mul_f32_dpp v194, v12, v194 row_newbcast:2 row_mask:0xf bank_mask:0xf// 0000000071F0: 0B8584FA FF01520C
	v_mul_f32_dpp v195, v12, v195 row_newbcast:3 row_mask:0xf bank_mask:0xf// 0000000071F8: 0B8786FA FF01530C
	v_mul_f32_e32 v192, v20, v192                              // 000000007200: 0B818114
	v_mul_f32_e32 v193, v20, v193                              // 000000007204: 0B838314
	v_mul_f32_e32 v194, v20, v194                              // 000000007208: 0B858514
	v_mul_f32_e32 v195, v20, v195                              // 00000000720C: 0B878714
	v_mul_f32_e32 v196, v25, v196                              // 000000007210: 0B898919
	v_mul_f32_e32 v197, v25, v197                              // 000000007214: 0B8B8B19
	v_mul_f32_e32 v198, v25, v198                              // 000000007218: 0B8D8D19
	v_mul_f32_e32 v199, v25, v199                              // 00000000721C: 0B8F8F19
	v_mul_f32_dpp v196, v12, v196 row_newbcast:0 row_mask:0xf bank_mask:0xf// 000000007220: 0B8988FA FF01500C
	v_mul_f32_dpp v197, v12, v197 row_newbcast:1 row_mask:0xf bank_mask:0xf// 000000007228: 0B8B8AFA FF01510C
	v_mul_f32_dpp v198, v12, v198 row_newbcast:2 row_mask:0xf bank_mask:0xf// 000000007230: 0B8D8CFA FF01520C
	v_mul_f32_dpp v199, v12, v199 row_newbcast:3 row_mask:0xf bank_mask:0xf// 000000007238: 0B8F8EFA FF01530C
	v_mul_f32_e32 v196, v21, v196                              // 000000007240: 0B898915
	v_mul_f32_e32 v197, v21, v197                              // 000000007244: 0B8B8B15
	v_mul_f32_e32 v198, v21, v198                              // 000000007248: 0B8D8D15
	v_mul_f32_e32 v199, v21, v199                              // 00000000724C: 0B8F8F15
	v_mul_f32_e32 v200, v24, v200                              // 000000007250: 0B919118
	v_mul_f32_e32 v201, v24, v201                              // 000000007254: 0B939318
	v_mul_f32_e32 v202, v24, v202                              // 000000007258: 0B959518
	v_mul_f32_e32 v203, v24, v203                              // 00000000725C: 0B979718
	v_mul_f32_dpp v200, v12, v200 row_newbcast:4 row_mask:0xf bank_mask:0xf// 000000007260: 0B9190FA FF01540C
	v_mul_f32_dpp v201, v12, v201 row_newbcast:5 row_mask:0xf bank_mask:0xf// 000000007268: 0B9392FA FF01550C
	v_mul_f32_dpp v202, v12, v202 row_newbcast:6 row_mask:0xf bank_mask:0xf// 000000007270: 0B9594FA FF01560C
	v_mul_f32_dpp v203, v12, v203 row_newbcast:7 row_mask:0xf bank_mask:0xf// 000000007278: 0B9796FA FF01570C
	v_mul_f32_e32 v200, v20, v200                              // 000000007280: 0B919114
	v_mul_f32_e32 v201, v20, v201                              // 000000007284: 0B939314
	v_mul_f32_e32 v202, v20, v202                              // 000000007288: 0B959514
	v_mul_f32_e32 v203, v20, v203                              // 00000000728C: 0B979714
	v_mul_f32_e32 v204, v25, v204                              // 000000007290: 0B999919
	v_mul_f32_e32 v205, v25, v205                              // 000000007294: 0B9B9B19
	v_mul_f32_e32 v206, v25, v206                              // 000000007298: 0B9D9D19
	v_mul_f32_e32 v207, v25, v207                              // 00000000729C: 0B9F9F19
	v_mul_f32_dpp v204, v12, v204 row_newbcast:4 row_mask:0xf bank_mask:0xf// 0000000072A0: 0B9998FA FF01540C
	v_mul_f32_dpp v205, v12, v205 row_newbcast:5 row_mask:0xf bank_mask:0xf// 0000000072A8: 0B9B9AFA FF01550C
	v_mul_f32_dpp v206, v12, v206 row_newbcast:6 row_mask:0xf bank_mask:0xf// 0000000072B0: 0B9D9CFA FF01560C
	v_mul_f32_dpp v207, v12, v207 row_newbcast:7 row_mask:0xf bank_mask:0xf// 0000000072B8: 0B9F9EFA FF01570C
	v_mul_f32_e32 v204, v21, v204                              // 0000000072C0: 0B999915
	v_mul_f32_e32 v205, v21, v205                              // 0000000072C4: 0B9B9B15
	v_mul_f32_e32 v206, v21, v206                              // 0000000072C8: 0B9D9D15
	v_mul_f32_e32 v207, v21, v207                              // 0000000072CC: 0B9F9F15
	v_mul_f32_e32 v208, v24, v208                              // 0000000072D0: 0BA1A118
	v_mul_f32_e32 v209, v24, v209                              // 0000000072D4: 0BA3A318
	v_mul_f32_e32 v210, v24, v210                              // 0000000072D8: 0BA5A518
	v_mul_f32_e32 v211, v24, v211                              // 0000000072DC: 0BA7A718
	v_mul_f32_dpp v208, v12, v208 row_newbcast:8 row_mask:0xf bank_mask:0xf// 0000000072E0: 0BA1A0FA FF01580C
	v_mul_f32_dpp v209, v12, v209 row_newbcast:9 row_mask:0xf bank_mask:0xf// 0000000072E8: 0BA3A2FA FF01590C
	v_mul_f32_dpp v210, v12, v210 row_newbcast:10 row_mask:0xf bank_mask:0xf// 0000000072F0: 0BA5A4FA FF015A0C
	v_mul_f32_dpp v211, v12, v211 row_newbcast:11 row_mask:0xf bank_mask:0xf// 0000000072F8: 0BA7A6FA FF015B0C
	v_mul_f32_e32 v208, v20, v208                              // 000000007300: 0BA1A114
	v_mul_f32_e32 v209, v20, v209                              // 000000007304: 0BA3A314
	v_mul_f32_e32 v210, v20, v210                              // 000000007308: 0BA5A514
	v_mul_f32_e32 v211, v20, v211                              // 00000000730C: 0BA7A714
	v_mul_f32_e32 v212, v25, v212                              // 000000007310: 0BA9A919
	v_mul_f32_e32 v213, v25, v213                              // 000000007314: 0BABAB19
	v_mul_f32_e32 v214, v25, v214                              // 000000007318: 0BADAD19
	v_mul_f32_e32 v215, v25, v215                              // 00000000731C: 0BAFAF19
	v_mul_f32_dpp v212, v12, v212 row_newbcast:8 row_mask:0xf bank_mask:0xf// 000000007320: 0BA9A8FA FF01580C
	v_mul_f32_dpp v213, v12, v213 row_newbcast:9 row_mask:0xf bank_mask:0xf// 000000007328: 0BABAAFA FF01590C
	v_mul_f32_dpp v214, v12, v214 row_newbcast:10 row_mask:0xf bank_mask:0xf// 000000007330: 0BADACFA FF015A0C
	v_mul_f32_dpp v215, v12, v215 row_newbcast:11 row_mask:0xf bank_mask:0xf// 000000007338: 0BAFAEFA FF015B0C
	v_mul_f32_e32 v212, v21, v212                              // 000000007340: 0BA9A915
	v_mul_f32_e32 v213, v21, v213                              // 000000007344: 0BABAB15
	v_mul_f32_e32 v214, v21, v214                              // 000000007348: 0BADAD15
	v_mul_f32_e32 v215, v21, v215                              // 00000000734C: 0BAFAF15
	v_mul_f32_e32 v216, v24, v216                              // 000000007350: 0BB1B118
	v_mul_f32_e32 v217, v24, v217                              // 000000007354: 0BB3B318
	v_mul_f32_e32 v218, v24, v218                              // 000000007358: 0BB5B518
	v_mul_f32_e32 v219, v24, v219                              // 00000000735C: 0BB7B718
	v_mul_f32_dpp v216, v12, v216 row_newbcast:12 row_mask:0xf bank_mask:0xf// 000000007360: 0BB1B0FA FF015C0C
	v_mul_f32_dpp v217, v12, v217 row_newbcast:13 row_mask:0xf bank_mask:0xf// 000000007368: 0BB3B2FA FF015D0C
	v_mul_f32_dpp v218, v12, v218 row_newbcast:14 row_mask:0xf bank_mask:0xf// 000000007370: 0BB5B4FA FF015E0C
	v_mul_f32_dpp v219, v12, v219 row_newbcast:15 row_mask:0xf bank_mask:0xf// 000000007378: 0BB7B6FA FF015F0C
	v_mul_f32_e32 v216, v20, v216                              // 000000007380: 0BB1B114
	v_mul_f32_e32 v217, v20, v217                              // 000000007384: 0BB3B314
	v_mul_f32_e32 v218, v20, v218                              // 000000007388: 0BB5B514
	v_mul_f32_e32 v219, v20, v219                              // 00000000738C: 0BB7B714
	v_mul_f32_e32 v220, v25, v220                              // 000000007390: 0BB9B919
	v_mul_f32_e32 v221, v25, v221                              // 000000007394: 0BBBBB19
	v_mul_f32_e32 v222, v25, v222                              // 000000007398: 0BBDBD19
	v_mul_f32_e32 v223, v25, v223                              // 00000000739C: 0BBFBF19
	v_mul_f32_dpp v220, v12, v220 row_newbcast:12 row_mask:0xf bank_mask:0xf// 0000000073A0: 0BB9B8FA FF015C0C
	v_mul_f32_dpp v221, v12, v221 row_newbcast:13 row_mask:0xf bank_mask:0xf// 0000000073A8: 0BBBBAFA FF015D0C
	v_mul_f32_dpp v222, v12, v222 row_newbcast:14 row_mask:0xf bank_mask:0xf// 0000000073B0: 0BBDBCFA FF015E0C
	v_mul_f32_dpp v223, v12, v223 row_newbcast:15 row_mask:0xf bank_mask:0xf// 0000000073B8: 0BBFBEFA FF015F0C
	v_mul_f32_e32 v220, v21, v220                              // 0000000073C0: 0BB9B915
	v_mul_f32_e32 v221, v21, v221                              // 0000000073C4: 0BBBBB15
	v_mul_f32_e32 v222, v21, v222                              // 0000000073C8: 0BBDBD15
	v_mul_f32_e32 v223, v21, v223                              // 0000000073CC: 0BBFBF15
	v_cmp_u_f32_e64 s[48:49], v192, v192                       // 0000000073D0: D0480030 000381C0
	v_add3_u32 v46, v192, v49, 1                               // 0000000073D8: D1FF002E 020663C0
	v_cndmask_b32_e64 v52, v46, v48, s[48:49]                  // 0000000073E0: D1000034 00C2612E
	v_cmp_u_f32_e64 s[48:49], v193, v193                       // 0000000073E8: D0480030 000383C1
	v_add3_u32 v46, v193, v49, 1                               // 0000000073F0: D1FF002E 020663C1
	v_cndmask_b32_e64 v53, v46, v48, s[48:49]                  // 0000000073F8: D1000035 00C2612E
	v_perm_b32 v192, v53, v52, s52                             // 000000007400: D1ED00C0 00D26935
	v_cmp_u_f32_e64 s[48:49], v194, v194                       // 000000007408: D0480030 000385C2
	v_add3_u32 v46, v194, v49, 1                               // 000000007410: D1FF002E 020663C2
	v_cndmask_b32_e64 v52, v46, v48, s[48:49]                  // 000000007418: D1000034 00C2612E
	v_cmp_u_f32_e64 s[48:49], v195, v195                       // 000000007420: D0480030 000387C3
	v_add3_u32 v46, v195, v49, 1                               // 000000007428: D1FF002E 020663C3
	v_cndmask_b32_e64 v53, v46, v48, s[48:49]                  // 000000007430: D1000035 00C2612E
	v_perm_b32 v193, v53, v52, s52                             // 000000007438: D1ED00C1 00D26935
	v_cmp_u_f32_e64 s[48:49], v196, v196                       // 000000007440: D0480030 000389C4
	v_add3_u32 v46, v196, v49, 1                               // 000000007448: D1FF002E 020663C4
	v_cndmask_b32_e64 v52, v46, v48, s[48:49]                  // 000000007450: D1000034 00C2612E
	v_cmp_u_f32_e64 s[48:49], v197, v197                       // 000000007458: D0480030 00038BC5
	v_add3_u32 v46, v197, v49, 1                               // 000000007460: D1FF002E 020663C5
	v_cndmask_b32_e64 v53, v46, v48, s[48:49]                  // 000000007468: D1000035 00C2612E
	v_perm_b32 v194, v53, v52, s52                             // 000000007470: D1ED00C2 00D26935
	v_cmp_u_f32_e64 s[48:49], v198, v198                       // 000000007478: D0480030 00038DC6
	v_add3_u32 v46, v198, v49, 1                               // 000000007480: D1FF002E 020663C6
	v_cndmask_b32_e64 v52, v46, v48, s[48:49]                  // 000000007488: D1000034 00C2612E
	v_cmp_u_f32_e64 s[48:49], v199, v199                       // 000000007490: D0480030 00038FC7
	v_add3_u32 v46, v199, v49, 1                               // 000000007498: D1FF002E 020663C7
	v_cndmask_b32_e64 v53, v46, v48, s[48:49]                  // 0000000074A0: D1000035 00C2612E
	v_perm_b32 v195, v53, v52, s52                             // 0000000074A8: D1ED00C3 00D26935
	v_cmp_u_f32_e64 s[48:49], v200, v200                       // 0000000074B0: D0480030 000391C8
	v_add3_u32 v46, v200, v49, 1                               // 0000000074B8: D1FF002E 020663C8
	v_cndmask_b32_e64 v52, v46, v48, s[48:49]                  // 0000000074C0: D1000034 00C2612E
	v_cmp_u_f32_e64 s[48:49], v201, v201                       // 0000000074C8: D0480030 000393C9
	v_add3_u32 v46, v201, v49, 1                               // 0000000074D0: D1FF002E 020663C9
	v_cndmask_b32_e64 v53, v46, v48, s[48:49]                  // 0000000074D8: D1000035 00C2612E
	v_perm_b32 v196, v53, v52, s52                             // 0000000074E0: D1ED00C4 00D26935
	v_cmp_u_f32_e64 s[48:49], v202, v202                       // 0000000074E8: D0480030 000395CA
	v_add3_u32 v46, v202, v49, 1                               // 0000000074F0: D1FF002E 020663CA
	v_cndmask_b32_e64 v52, v46, v48, s[48:49]                  // 0000000074F8: D1000034 00C2612E
	v_cmp_u_f32_e64 s[48:49], v203, v203                       // 000000007500: D0480030 000397CB
	v_add3_u32 v46, v203, v49, 1                               // 000000007508: D1FF002E 020663CB
	v_cndmask_b32_e64 v53, v46, v48, s[48:49]                  // 000000007510: D1000035 00C2612E
	v_perm_b32 v197, v53, v52, s52                             // 000000007518: D1ED00C5 00D26935
	v_cmp_u_f32_e64 s[48:49], v204, v204                       // 000000007520: D0480030 000399CC
	v_add3_u32 v46, v204, v49, 1                               // 000000007528: D1FF002E 020663CC
	v_cndmask_b32_e64 v52, v46, v48, s[48:49]                  // 000000007530: D1000034 00C2612E
	v_cmp_u_f32_e64 s[48:49], v205, v205                       // 000000007538: D0480030 00039BCD
	v_add3_u32 v46, v205, v49, 1                               // 000000007540: D1FF002E 020663CD
	v_cndmask_b32_e64 v53, v46, v48, s[48:49]                  // 000000007548: D1000035 00C2612E
	v_perm_b32 v198, v53, v52, s52                             // 000000007550: D1ED00C6 00D26935
	v_cmp_u_f32_e64 s[48:49], v206, v206                       // 000000007558: D0480030 00039DCE
	v_add3_u32 v46, v206, v49, 1                               // 000000007560: D1FF002E 020663CE
	v_cndmask_b32_e64 v52, v46, v48, s[48:49]                  // 000000007568: D1000034 00C2612E
	v_cmp_u_f32_e64 s[48:49], v207, v207                       // 000000007570: D0480030 00039FCF
	v_add3_u32 v46, v207, v49, 1                               // 000000007578: D1FF002E 020663CF
	v_cndmask_b32_e64 v53, v46, v48, s[48:49]                  // 000000007580: D1000035 00C2612E
	v_perm_b32 v199, v53, v52, s52                             // 000000007588: D1ED00C7 00D26935
	v_cmp_u_f32_e64 s[48:49], v208, v208                       // 000000007590: D0480030 0003A1D0
	v_add3_u32 v46, v208, v49, 1                               // 000000007598: D1FF002E 020663D0
	v_cndmask_b32_e64 v52, v46, v48, s[48:49]                  // 0000000075A0: D1000034 00C2612E
	v_cmp_u_f32_e64 s[48:49], v209, v209                       // 0000000075A8: D0480030 0003A3D1
	v_add3_u32 v46, v209, v49, 1                               // 0000000075B0: D1FF002E 020663D1
	v_cndmask_b32_e64 v53, v46, v48, s[48:49]                  // 0000000075B8: D1000035 00C2612E
	v_perm_b32 v200, v53, v52, s52                             // 0000000075C0: D1ED00C8 00D26935
	v_cmp_u_f32_e64 s[48:49], v210, v210                       // 0000000075C8: D0480030 0003A5D2
	v_add3_u32 v46, v210, v49, 1                               // 0000000075D0: D1FF002E 020663D2
	v_cndmask_b32_e64 v52, v46, v48, s[48:49]                  // 0000000075D8: D1000034 00C2612E
	v_cmp_u_f32_e64 s[48:49], v211, v211                       // 0000000075E0: D0480030 0003A7D3
	v_add3_u32 v46, v211, v49, 1                               // 0000000075E8: D1FF002E 020663D3
	v_cndmask_b32_e64 v53, v46, v48, s[48:49]                  // 0000000075F0: D1000035 00C2612E
	v_perm_b32 v201, v53, v52, s52                             // 0000000075F8: D1ED00C9 00D26935
	v_cmp_u_f32_e64 s[48:49], v212, v212                       // 000000007600: D0480030 0003A9D4
	v_add3_u32 v46, v212, v49, 1                               // 000000007608: D1FF002E 020663D4
	v_cndmask_b32_e64 v52, v46, v48, s[48:49]                  // 000000007610: D1000034 00C2612E
	v_cmp_u_f32_e64 s[48:49], v213, v213                       // 000000007618: D0480030 0003ABD5
	v_add3_u32 v46, v213, v49, 1                               // 000000007620: D1FF002E 020663D5
	v_cndmask_b32_e64 v53, v46, v48, s[48:49]                  // 000000007628: D1000035 00C2612E
	v_perm_b32 v202, v53, v52, s52                             // 000000007630: D1ED00CA 00D26935
	v_cmp_u_f32_e64 s[48:49], v214, v214                       // 000000007638: D0480030 0003ADD6
	v_add3_u32 v46, v214, v49, 1                               // 000000007640: D1FF002E 020663D6
	v_cndmask_b32_e64 v52, v46, v48, s[48:49]                  // 000000007648: D1000034 00C2612E
	v_cmp_u_f32_e64 s[48:49], v215, v215                       // 000000007650: D0480030 0003AFD7
	v_add3_u32 v46, v215, v49, 1                               // 000000007658: D1FF002E 020663D7
	v_cndmask_b32_e64 v53, v46, v48, s[48:49]                  // 000000007660: D1000035 00C2612E
	v_perm_b32 v203, v53, v52, s52                             // 000000007668: D1ED00CB 00D26935
	v_cmp_u_f32_e64 s[48:49], v216, v216                       // 000000007670: D0480030 0003B1D8
	v_add3_u32 v46, v216, v49, 1                               // 000000007678: D1FF002E 020663D8
	v_cndmask_b32_e64 v52, v46, v48, s[48:49]                  // 000000007680: D1000034 00C2612E
	v_cmp_u_f32_e64 s[48:49], v217, v217                       // 000000007688: D0480030 0003B3D9
	v_add3_u32 v46, v217, v49, 1                               // 000000007690: D1FF002E 020663D9
	v_cndmask_b32_e64 v53, v46, v48, s[48:49]                  // 000000007698: D1000035 00C2612E
	v_perm_b32 v204, v53, v52, s52                             // 0000000076A0: D1ED00CC 00D26935
	v_cmp_u_f32_e64 s[48:49], v218, v218                       // 0000000076A8: D0480030 0003B5DA
	v_add3_u32 v46, v218, v49, 1                               // 0000000076B0: D1FF002E 020663DA
	v_cndmask_b32_e64 v52, v46, v48, s[48:49]                  // 0000000076B8: D1000034 00C2612E
	v_cmp_u_f32_e64 s[48:49], v219, v219                       // 0000000076C0: D0480030 0003B7DB
	v_add3_u32 v46, v219, v49, 1                               // 0000000076C8: D1FF002E 020663DB
	v_cndmask_b32_e64 v53, v46, v48, s[48:49]                  // 0000000076D0: D1000035 00C2612E
	v_perm_b32 v205, v53, v52, s52                             // 0000000076D8: D1ED00CD 00D26935
	v_cmp_u_f32_e64 s[48:49], v220, v220                       // 0000000076E0: D0480030 0003B9DC
	v_add3_u32 v46, v220, v49, 1                               // 0000000076E8: D1FF002E 020663DC
	v_cndmask_b32_e64 v52, v46, v48, s[48:49]                  // 0000000076F0: D1000034 00C2612E
	v_cmp_u_f32_e64 s[48:49], v221, v221                       // 0000000076F8: D0480030 0003BBDD
	v_add3_u32 v46, v221, v49, 1                               // 000000007700: D1FF002E 020663DD
	v_cndmask_b32_e64 v53, v46, v48, s[48:49]                  // 000000007708: D1000035 00C2612E
	v_perm_b32 v206, v53, v52, s52                             // 000000007710: D1ED00CE 00D26935
	v_cmp_u_f32_e64 s[48:49], v222, v222                       // 000000007718: D0480030 0003BDDE
	v_add3_u32 v46, v222, v49, 1                               // 000000007720: D1FF002E 020663DE
	v_cndmask_b32_e64 v52, v46, v48, s[48:49]                  // 000000007728: D1000034 00C2612E
	v_cmp_u_f32_e64 s[48:49], v223, v223                       // 000000007730: D0480030 0003BFDF
	v_add3_u32 v46, v223, v49, 1                               // 000000007738: D1FF002E 020663DF
	v_cndmask_b32_e64 v53, v46, v48, s[48:49]                  // 000000007740: D1000035 00C2612E
	v_perm_b32 v207, v53, v52, s52                             // 000000007748: D1ED00CF 00D26935
	ds_write_b64 v3, v[192:193] offset:35072                   // 000000007750: D89A8900 0000C003
	ds_write_b64 v3, v[194:195] offset:43776                   // 000000007758: D89AAB00 0000C203
	ds_write_b64 v3, v[196:197] offset:37248                   // 000000007760: D89A9180 0000C403
	ds_write_b64 v3, v[198:199] offset:45952                   // 000000007768: D89AB380 0000C603
	ds_write_b64 v3, v[200:201] offset:39424                   // 000000007770: D89A9A00 0000C803
	ds_write_b64 v3, v[202:203] offset:48128                   // 000000007778: D89ABC00 0000CA03
	ds_write_b64 v3, v[204:205] offset:41600                   // 000000007780: D89AA280 0000CC03
	ds_write_b64 v3, v[206:207] offset:50304                   // 000000007788: D89AC480 0000CE03
	s_waitcnt lgkmcnt(0)                                       // 000000007790: BF8CC07F
	s_barrier                                                  // 000000007794: BF8A0000
	ds_read_b32 v64, v4 offset:35072                           // 000000007798: D86C8900 40000004
	ds_read_b32 v65, v4 offset:39424                           // 0000000077A0: D86C9A00 41000004
	ds_read_b32 v66, v4 offset:35104                           // 0000000077A8: D86C8920 42000004
	ds_read_b32 v67, v4 offset:39456                           // 0000000077B0: D86C9A20 43000004
	ds_read_b32 v68, v4 offset:35136                           // 0000000077B8: D86C8940 44000004
	ds_read_b32 v69, v4 offset:39488                           // 0000000077C0: D86C9A40 45000004
	ds_read_b32 v70, v4 offset:35168                           // 0000000077C8: D86C8960 46000004
	ds_read_b32 v71, v4 offset:39520                           // 0000000077D0: D86C9A60 47000004
	ds_read_b32 v72, v4 offset:43776                           // 0000000077D8: D86CAB00 48000004
	ds_read_b32 v73, v4 offset:48128                           // 0000000077E0: D86CBC00 49000004
	ds_read_b32 v74, v4 offset:43808                           // 0000000077E8: D86CAB20 4A000004
	ds_read_b32 v75, v4 offset:48160                           // 0000000077F0: D86CBC20 4B000004
	ds_read_b32 v76, v4 offset:43840                           // 0000000077F8: D86CAB40 4C000004
	ds_read_b32 v77, v4 offset:48192                           // 000000007800: D86CBC40 4D000004
	ds_read_b32 v78, v4 offset:43872                           // 000000007808: D86CAB60 4E000004
	ds_read_b32 v79, v4 offset:48224                           // 000000007810: D86CBC60 4F000004
	s_waitcnt lgkmcnt(0)                                       // 000000007818: BF8CC07F
	s_mov_b64 exec, s[20:21]                                   // 00000000781C: BEFE0114
	global_atomic_pk_add_bf16 v80, v64, s[8:9]                 // 000000007820: DD488000 00084050
	s_mov_b64 exec, s[36:37]                                   // 000000007828: BEFE0124
	s_mov_b64 exec, s[20:21]                                   // 00000000782C: BEFE0114
	global_atomic_pk_add_bf16 v80, v65, s[8:9] offset:256      // 000000007830: DD488100 00084150
	s_mov_b64 exec, s[36:37]                                   // 000000007838: BEFE0124
	s_mov_b64 exec, s[22:23]                                   // 00000000783C: BEFE0116
	global_atomic_pk_add_bf16 v82, v66, s[8:9]                 // 000000007840: DD488000 00084252
	s_mov_b64 exec, s[36:37]                                   // 000000007848: BEFE0124
	s_mov_b64 exec, s[22:23]                                   // 00000000784C: BEFE0116
	global_atomic_pk_add_bf16 v82, v67, s[8:9] offset:256      // 000000007850: DD488100 00084352
	s_mov_b64 exec, s[36:37]                                   // 000000007858: BEFE0124
	s_mov_b64 exec, s[24:25]                                   // 00000000785C: BEFE0118
	global_atomic_pk_add_bf16 v84, v68, s[8:9]                 // 000000007860: DD488000 00084454
	s_mov_b64 exec, s[36:37]                                   // 000000007868: BEFE0124
	s_mov_b64 exec, s[24:25]                                   // 00000000786C: BEFE0118
	global_atomic_pk_add_bf16 v84, v69, s[8:9] offset:256      // 000000007870: DD488100 00084554
	s_mov_b64 exec, s[36:37]                                   // 000000007878: BEFE0124
	s_mov_b64 exec, s[26:27]                                   // 00000000787C: BEFE011A
	global_atomic_pk_add_bf16 v86, v70, s[8:9]                 // 000000007880: DD488000 00084656
	s_mov_b64 exec, s[36:37]                                   // 000000007888: BEFE0124
	s_mov_b64 exec, s[26:27]                                   // 00000000788C: BEFE011A
	global_atomic_pk_add_bf16 v86, v71, s[8:9] offset:256      // 000000007890: DD488100 00084756
	s_mov_b64 exec, s[36:37]                                   // 000000007898: BEFE0124
	s_mov_b64 exec, s[28:29]                                   // 00000000789C: BEFE011C
	global_atomic_pk_add_bf16 v88, v72, s[8:9]                 // 0000000078A0: DD488000 00084858
	s_mov_b64 exec, s[36:37]                                   // 0000000078A8: BEFE0124
	s_mov_b64 exec, s[28:29]                                   // 0000000078AC: BEFE011C
	global_atomic_pk_add_bf16 v88, v73, s[8:9] offset:256      // 0000000078B0: DD488100 00084958
	s_mov_b64 exec, s[36:37]                                   // 0000000078B8: BEFE0124
	s_mov_b64 exec, s[30:31]                                   // 0000000078BC: BEFE011E
	global_atomic_pk_add_bf16 v90, v74, s[8:9]                 // 0000000078C0: DD488000 00084A5A
	s_mov_b64 exec, s[36:37]                                   // 0000000078C8: BEFE0124
	s_mov_b64 exec, s[30:31]                                   // 0000000078CC: BEFE011E
	global_atomic_pk_add_bf16 v90, v75, s[8:9] offset:256      // 0000000078D0: DD488100 00084B5A
	s_mov_b64 exec, s[36:37]                                   // 0000000078D8: BEFE0124
	s_mov_b64 exec, s[32:33]                                   // 0000000078DC: BEFE0120
	global_atomic_pk_add_bf16 v92, v76, s[8:9]                 // 0000000078E0: DD488000 00084C5C
	s_mov_b64 exec, s[36:37]                                   // 0000000078E8: BEFE0124
	s_mov_b64 exec, s[32:33]                                   // 0000000078EC: BEFE0120
	global_atomic_pk_add_bf16 v92, v77, s[8:9] offset:256      // 0000000078F0: DD488100 00084D5C
	s_mov_b64 exec, s[36:37]                                   // 0000000078F8: BEFE0124
	s_mov_b64 exec, s[34:35]                                   // 0000000078FC: BEFE0122
	global_atomic_pk_add_bf16 v94, v78, s[8:9]                 // 000000007900: DD488000 00084E5E
	s_mov_b64 exec, s[36:37]                                   // 000000007908: BEFE0124
	s_mov_b64 exec, s[34:35]                                   // 00000000790C: BEFE0122
	global_atomic_pk_add_bf16 v94, v79, s[8:9] offset:256      // 000000007910: DD488100 00084F5E
	s_mov_b64 exec, s[36:37]                                   // 000000007918: BEFE0124
	s_add_u32 s8, s59, s8                                      // 00000000791C: 8008083B
	s_addc_u32 s9, 0, s9                                       // 000000007920: 82090980
	s_addk_i32 s80, 0x100                                      // 000000007924: B7500100
	s_cmp_lt_i32 s80, s81                                      // 000000007928: BF045150
	s_cbranch_scc0 label_1608                                  // 00000000792C: BF84033C
	s_waitcnt vmcnt(45)                                        // 000000007930: BF8C8F7D
	s_barrier                                                  // 000000007934: BF8A0000
	v_mfma_f32_16x16x32_fp8_fp8 v[224:227], a[128:129], v[128:129], 0// 000000007938: D3F300E0 0A030180
	v_mfma_f32_16x16x32_fp8_fp8 v[224:227], a[130:131], v[130:131], v[224:227]// 000000007940: D3F300E0 0F830582
	buffer_load_dwordx4 a[0:3], v42, s[12:15], 0 offen         // 000000007948: E05C1000 8083002A
	v_mfma_f32_16x16x32_fp8_fp8 v[228:231], a[128:129], v[160:161], 0// 000000007950: D3F300E4 0A034180
	v_mfma_f32_16x16x32_fp8_fp8 v[228:231], a[130:131], v[162:163], v[228:231]// 000000007958: D3F300E4 0F934582
	v_mfma_f32_16x16x32_fp8_fp8 v[232:235], a[132:133], v[128:129], 0// 000000007960: D3F300E8 0A030184
	v_mfma_f32_16x16x32_fp8_fp8 v[232:235], a[134:135], v[130:131], v[232:235]// 000000007968: D3F300E8 0FA30586
	buffer_load_dwordx4 a[4:7], v43, s[12:15], 0 offen         // 000000007970: E05C1000 8083042B
	v_mfma_f32_16x16x32_fp8_fp8 v[236:239], a[132:133], v[160:161], 0// 000000007978: D3F300EC 0A034184
	v_mfma_f32_16x16x32_fp8_fp8 v[236:239], a[134:135], v[162:163], v[236:239]// 000000007980: D3F300EC 0FB34586
	v_mfma_f32_16x16x32_fp8_fp8 v[240:243], a[136:137], v[128:129], 0// 000000007988: D3F300F0 0A030188
	v_mfma_f32_16x16x32_fp8_fp8 v[240:243], a[138:139], v[130:131], v[240:243]// 000000007990: D3F300F0 0FC3058A
	buffer_load_dwordx4 a[8:11], v44, s[12:15], 0 offen        // 000000007998: E05C1000 8083082C
	v_mfma_f32_16x16x32_fp8_fp8 v[244:247], a[136:137], v[160:161], 0// 0000000079A0: D3F300F4 0A034188
	v_mfma_f32_16x16x32_fp8_fp8 v[244:247], a[138:139], v[162:163], v[244:247]// 0000000079A8: D3F300F4 0FD3458A
	v_mfma_f32_16x16x32_fp8_fp8 v[248:251], a[140:141], v[128:129], 0// 0000000079B0: D3F300F8 0A03018C
	v_mfma_f32_16x16x32_fp8_fp8 v[248:251], a[142:143], v[130:131], v[248:251]// 0000000079B8: D3F300F8 0FE3058E
	buffer_load_dwordx4 a[12:15], v45, s[12:15], 0 offen       // 0000000079C0: E05C1000 80830C2D
	s_add_u32 s12, s78, s12                                    // 0000000079C8: 800C0C4E
	s_addc_u32 s13, 0, s13                                     // 0000000079CC: 820D0D80
	v_mfma_f32_16x16x32_fp8_fp8 v[252:255], a[140:141], v[160:161], 0// 0000000079D0: D3F300FC 0A03418C
	v_mfma_f32_16x16x32_fp8_fp8 v[252:255], a[142:143], v[162:163], v[252:255]// 0000000079D8: D3F300FC 0FF3458E
	s_waitcnt vmcnt(45)                                        // 0000000079E0: BF8C8F7D
	v_mfma_f32_16x16x32_fp8_fp8 v[224:227], a[144:145], v[132:133], v[224:227]// 0000000079E4: D3F300E0 0F830990
	v_mfma_f32_16x16x32_fp8_fp8 v[224:227], a[146:147], v[134:135], v[224:227]// 0000000079EC: D3F300E0 0F830D92
	buffer_load_dwordx4 a[16:19], v42, s[12:15], 0 offen       // 0000000079F4: E05C1000 8083102A
	v_mfma_f32_16x16x32_fp8_fp8 v[228:231], a[144:145], v[164:165], v[228:231]// 0000000079FC: D3F300E4 0F934990
	v_mfma_f32_16x16x32_fp8_fp8 v[228:231], a[146:147], v[166:167], v[228:231]// 000000007A04: D3F300E4 0F934D92
	v_mfma_f32_16x16x32_fp8_fp8 v[232:235], a[148:149], v[132:133], v[232:235]// 000000007A0C: D3F300E8 0FA30994
	v_mfma_f32_16x16x32_fp8_fp8 v[232:235], a[150:151], v[134:135], v[232:235]// 000000007A14: D3F300E8 0FA30D96
	buffer_load_dwordx4 a[20:23], v43, s[12:15], 0 offen       // 000000007A1C: E05C1000 8083142B
	v_mfma_f32_16x16x32_fp8_fp8 v[236:239], a[148:149], v[164:165], v[236:239]// 000000007A24: D3F300EC 0FB34994
	v_mfma_f32_16x16x32_fp8_fp8 v[236:239], a[150:151], v[166:167], v[236:239]// 000000007A2C: D3F300EC 0FB34D96
	v_mfma_f32_16x16x32_fp8_fp8 v[240:243], a[152:153], v[132:133], v[240:243]// 000000007A34: D3F300F0 0FC30998
	v_mfma_f32_16x16x32_fp8_fp8 v[240:243], a[154:155], v[134:135], v[240:243]// 000000007A3C: D3F300F0 0FC30D9A
	buffer_load_dwordx4 a[24:27], v44, s[12:15], 0 offen       // 000000007A44: E05C1000 8083182C
	v_mfma_f32_16x16x32_fp8_fp8 v[244:247], a[152:153], v[164:165], v[244:247]// 000000007A4C: D3F300F4 0FD34998
	v_mfma_f32_16x16x32_fp8_fp8 v[244:247], a[154:155], v[166:167], v[244:247]// 000000007A54: D3F300F4 0FD34D9A
	v_mfma_f32_16x16x32_fp8_fp8 v[248:251], a[156:157], v[132:133], v[248:251]// 000000007A5C: D3F300F8 0FE3099C
	v_mfma_f32_16x16x32_fp8_fp8 v[248:251], a[158:159], v[134:135], v[248:251]// 000000007A64: D3F300F8 0FE30D9E
	buffer_load_dwordx4 a[28:31], v45, s[12:15], 0 offen       // 000000007A6C: E05C1000 80831C2D
	s_add_u32 s12, s78, s12                                    // 000000007A74: 800C0C4E
	s_addc_u32 s13, 0, s13                                     // 000000007A78: 820D0D80
	v_mfma_f32_16x16x32_fp8_fp8 v[252:255], a[156:157], v[164:165], v[252:255]// 000000007A7C: D3F300FC 0FF3499C
	v_mfma_f32_16x16x32_fp8_fp8 v[252:255], a[158:159], v[166:167], v[252:255]// 000000007A84: D3F300FC 0FF34D9E
	s_waitcnt vmcnt(45)                                        // 000000007A8C: BF8C8F7D
	v_mfma_f32_16x16x32_fp8_fp8 v[224:227], a[160:161], v[136:137], v[224:227]// 000000007A90: D3F300E0 0F8311A0
	v_mfma_f32_16x16x32_fp8_fp8 v[224:227], a[162:163], v[138:139], v[224:227]// 000000007A98: D3F300E0 0F8315A2
	buffer_load_dwordx4 a[32:35], v42, s[12:15], 0 offen       // 000000007AA0: E05C1000 8083202A
	v_mfma_f32_16x16x32_fp8_fp8 v[228:231], a[160:161], v[168:169], v[228:231]// 000000007AA8: D3F300E4 0F9351A0
	v_mfma_f32_16x16x32_fp8_fp8 v[228:231], a[162:163], v[170:171], v[228:231]// 000000007AB0: D3F300E4 0F9355A2
	v_mfma_f32_16x16x32_fp8_fp8 v[232:235], a[164:165], v[136:137], v[232:235]// 000000007AB8: D3F300E8 0FA311A4
	v_mfma_f32_16x16x32_fp8_fp8 v[232:235], a[166:167], v[138:139], v[232:235]// 000000007AC0: D3F300E8 0FA315A6
	buffer_load_dwordx4 a[36:39], v43, s[12:15], 0 offen       // 000000007AC8: E05C1000 8083242B
	v_mfma_f32_16x16x32_fp8_fp8 v[236:239], a[164:165], v[168:169], v[236:239]// 000000007AD0: D3F300EC 0FB351A4
	v_mfma_f32_16x16x32_fp8_fp8 v[236:239], a[166:167], v[170:171], v[236:239]// 000000007AD8: D3F300EC 0FB355A6
	v_mfma_f32_16x16x32_fp8_fp8 v[240:243], a[168:169], v[136:137], v[240:243]// 000000007AE0: D3F300F0 0FC311A8
	v_mfma_f32_16x16x32_fp8_fp8 v[240:243], a[170:171], v[138:139], v[240:243]// 000000007AE8: D3F300F0 0FC315AA
	buffer_load_dwordx4 a[40:43], v44, s[12:15], 0 offen       // 000000007AF0: E05C1000 8083282C
	v_mfma_f32_16x16x32_fp8_fp8 v[244:247], a[168:169], v[168:169], v[244:247]// 000000007AF8: D3F300F4 0FD351A8
	v_mfma_f32_16x16x32_fp8_fp8 v[244:247], a[170:171], v[170:171], v[244:247]// 000000007B00: D3F300F4 0FD355AA
	v_mfma_f32_16x16x32_fp8_fp8 v[248:251], a[172:173], v[136:137], v[248:251]// 000000007B08: D3F300F8 0FE311AC
	v_mfma_f32_16x16x32_fp8_fp8 v[248:251], a[174:175], v[138:139], v[248:251]// 000000007B10: D3F300F8 0FE315AE
	buffer_load_dwordx4 a[44:47], v45, s[12:15], 0 offen       // 000000007B18: E05C1000 80832C2D
	s_add_u32 s12, s78, s12                                    // 000000007B20: 800C0C4E
	s_addc_u32 s13, 0, s13                                     // 000000007B24: 820D0D80
	v_mfma_f32_16x16x32_fp8_fp8 v[252:255], a[172:173], v[168:169], v[252:255]// 000000007B28: D3F300FC 0FF351AC
	v_mfma_f32_16x16x32_fp8_fp8 v[252:255], a[174:175], v[170:171], v[252:255]// 000000007B30: D3F300FC 0FF355AE
	s_waitcnt vmcnt(45)                                        // 000000007B38: BF8C8F7D
	v_mfma_f32_16x16x32_fp8_fp8 v[224:227], a[176:177], v[140:141], v[224:227]// 000000007B3C: D3F300E0 0F8319B0
	v_mfma_f32_16x16x32_fp8_fp8 v[224:227], a[178:179], v[142:143], v[224:227]// 000000007B44: D3F300E0 0F831DB2
	buffer_load_dwordx4 a[48:51], v42, s[12:15], 0 offen       // 000000007B4C: E05C1000 8083302A
	v_mfma_f32_16x16x32_fp8_fp8 v[228:231], a[176:177], v[172:173], v[228:231]// 000000007B54: D3F300E4 0F9359B0
	v_mfma_f32_16x16x32_fp8_fp8 v[228:231], a[178:179], v[174:175], v[228:231]// 000000007B5C: D3F300E4 0F935DB2
	v_mfma_f32_16x16x32_fp8_fp8 v[232:235], a[180:181], v[140:141], v[232:235]// 000000007B64: D3F300E8 0FA319B4
	v_mfma_f32_16x16x32_fp8_fp8 v[232:235], a[182:183], v[142:143], v[232:235]// 000000007B6C: D3F300E8 0FA31DB6
	buffer_load_dwordx4 a[52:55], v43, s[12:15], 0 offen       // 000000007B74: E05C1000 8083342B
	v_mfma_f32_16x16x32_fp8_fp8 v[236:239], a[180:181], v[172:173], v[236:239]// 000000007B7C: D3F300EC 0FB359B4
	v_mfma_f32_16x16x32_fp8_fp8 v[236:239], a[182:183], v[174:175], v[236:239]// 000000007B84: D3F300EC 0FB35DB6
	v_mfma_f32_16x16x32_fp8_fp8 v[240:243], a[184:185], v[140:141], v[240:243]// 000000007B8C: D3F300F0 0FC319B8
	v_mfma_f32_16x16x32_fp8_fp8 v[240:243], a[186:187], v[142:143], v[240:243]// 000000007B94: D3F300F0 0FC31DBA
	buffer_load_dwordx4 a[56:59], v44, s[12:15], 0 offen       // 000000007B9C: E05C1000 8083382C
	v_mfma_f32_16x16x32_fp8_fp8 v[244:247], a[184:185], v[172:173], v[244:247]// 000000007BA4: D3F300F4 0FD359B8
	v_mfma_f32_16x16x32_fp8_fp8 v[244:247], a[186:187], v[174:175], v[244:247]// 000000007BAC: D3F300F4 0FD35DBA
	v_mfma_f32_16x16x32_fp8_fp8 v[248:251], a[188:189], v[140:141], v[248:251]// 000000007BB4: D3F300F8 0FE319BC
	v_mfma_f32_16x16x32_fp8_fp8 v[248:251], a[190:191], v[142:143], v[248:251]// 000000007BBC: D3F300F8 0FE31DBE
	buffer_load_dwordx4 a[60:63], v45, s[12:15], 0 offen       // 000000007BC4: E05C1000 80833C2D
	s_add_u32 s12, s78, s12                                    // 000000007BCC: 800C0C4E
	s_addc_u32 s13, 0, s13                                     // 000000007BD0: 820D0D80
	v_mfma_f32_16x16x32_fp8_fp8 v[252:255], a[188:189], v[172:173], v[252:255]// 000000007BD4: D3F300FC 0FF359BC
	v_mfma_f32_16x16x32_fp8_fp8 v[252:255], a[190:191], v[174:175], v[252:255]// 000000007BDC: D3F300FC 0FF35DBE
	s_waitcnt vmcnt(45)                                        // 000000007BE4: BF8C8F7D
	v_mfma_f32_16x16x32_fp8_fp8 v[224:227], a[192:193], v[144:145], v[224:227]// 000000007BE8: D3F300E0 0F8321C0
	v_mfma_f32_16x16x32_fp8_fp8 v[224:227], a[194:195], v[146:147], v[224:227]// 000000007BF0: D3F300E0 0F8325C2
	buffer_load_dwordx4 a[64:67], v42, s[12:15], 0 offen       // 000000007BF8: E05C1000 8083402A
	v_mfma_f32_16x16x32_fp8_fp8 v[228:231], a[192:193], v[176:177], v[228:231]// 000000007C00: D3F300E4 0F9361C0
	v_mfma_f32_16x16x32_fp8_fp8 v[228:231], a[194:195], v[178:179], v[228:231]// 000000007C08: D3F300E4 0F9365C2
	v_mfma_f32_16x16x32_fp8_fp8 v[232:235], a[196:197], v[144:145], v[232:235]// 000000007C10: D3F300E8 0FA321C4
	v_mfma_f32_16x16x32_fp8_fp8 v[232:235], a[198:199], v[146:147], v[232:235]// 000000007C18: D3F300E8 0FA325C6
	buffer_load_dwordx4 a[68:71], v43, s[12:15], 0 offen       // 000000007C20: E05C1000 8083442B
	v_mfma_f32_16x16x32_fp8_fp8 v[236:239], a[196:197], v[176:177], v[236:239]// 000000007C28: D3F300EC 0FB361C4
	v_mfma_f32_16x16x32_fp8_fp8 v[236:239], a[198:199], v[178:179], v[236:239]// 000000007C30: D3F300EC 0FB365C6
	v_mfma_f32_16x16x32_fp8_fp8 v[240:243], a[200:201], v[144:145], v[240:243]// 000000007C38: D3F300F0 0FC321C8
	v_mfma_f32_16x16x32_fp8_fp8 v[240:243], a[202:203], v[146:147], v[240:243]// 000000007C40: D3F300F0 0FC325CA
	buffer_load_dwordx4 a[72:75], v44, s[12:15], 0 offen       // 000000007C48: E05C1000 8083482C
	v_mfma_f32_16x16x32_fp8_fp8 v[244:247], a[200:201], v[176:177], v[244:247]// 000000007C50: D3F300F4 0FD361C8
	v_mfma_f32_16x16x32_fp8_fp8 v[244:247], a[202:203], v[178:179], v[244:247]// 000000007C58: D3F300F4 0FD365CA
	v_mfma_f32_16x16x32_fp8_fp8 v[248:251], a[204:205], v[144:145], v[248:251]// 000000007C60: D3F300F8 0FE321CC
	v_mfma_f32_16x16x32_fp8_fp8 v[248:251], a[206:207], v[146:147], v[248:251]// 000000007C68: D3F300F8 0FE325CE
	buffer_load_dwordx4 a[76:79], v45, s[12:15], 0 offen       // 000000007C70: E05C1000 80834C2D
	s_add_u32 s12, s78, s12                                    // 000000007C78: 800C0C4E
	s_addc_u32 s13, 0, s13                                     // 000000007C7C: 820D0D80
	v_mfma_f32_16x16x32_fp8_fp8 v[252:255], a[204:205], v[176:177], v[252:255]// 000000007C80: D3F300FC 0FF361CC
	v_mfma_f32_16x16x32_fp8_fp8 v[252:255], a[206:207], v[178:179], v[252:255]// 000000007C88: D3F300FC 0FF365CE
	s_waitcnt vmcnt(45)                                        // 000000007C90: BF8C8F7D
	v_mfma_f32_16x16x32_fp8_fp8 v[224:227], a[208:209], v[148:149], v[224:227]// 000000007C94: D3F300E0 0F8329D0
	v_mfma_f32_16x16x32_fp8_fp8 v[224:227], a[210:211], v[150:151], v[224:227]// 000000007C9C: D3F300E0 0F832DD2
	buffer_load_dwordx4 a[80:83], v42, s[12:15], 0 offen       // 000000007CA4: E05C1000 8083502A
	v_mfma_f32_16x16x32_fp8_fp8 v[228:231], a[208:209], v[180:181], v[228:231]// 000000007CAC: D3F300E4 0F9369D0
	v_mfma_f32_16x16x32_fp8_fp8 v[228:231], a[210:211], v[182:183], v[228:231]// 000000007CB4: D3F300E4 0F936DD2
	v_mfma_f32_16x16x32_fp8_fp8 v[232:235], a[212:213], v[148:149], v[232:235]// 000000007CBC: D3F300E8 0FA329D4
	v_mfma_f32_16x16x32_fp8_fp8 v[232:235], a[214:215], v[150:151], v[232:235]// 000000007CC4: D3F300E8 0FA32DD6
	buffer_load_dwordx4 a[84:87], v43, s[12:15], 0 offen       // 000000007CCC: E05C1000 8083542B
	v_mfma_f32_16x16x32_fp8_fp8 v[236:239], a[212:213], v[180:181], v[236:239]// 000000007CD4: D3F300EC 0FB369D4
	v_mfma_f32_16x16x32_fp8_fp8 v[236:239], a[214:215], v[182:183], v[236:239]// 000000007CDC: D3F300EC 0FB36DD6
	v_mfma_f32_16x16x32_fp8_fp8 v[240:243], a[216:217], v[148:149], v[240:243]// 000000007CE4: D3F300F0 0FC329D8
	v_mfma_f32_16x16x32_fp8_fp8 v[240:243], a[218:219], v[150:151], v[240:243]// 000000007CEC: D3F300F0 0FC32DDA
	buffer_load_dwordx4 a[88:91], v44, s[12:15], 0 offen       // 000000007CF4: E05C1000 8083582C
	v_mfma_f32_16x16x32_fp8_fp8 v[244:247], a[216:217], v[180:181], v[244:247]// 000000007CFC: D3F300F4 0FD369D8
	v_mfma_f32_16x16x32_fp8_fp8 v[244:247], a[218:219], v[182:183], v[244:247]// 000000007D04: D3F300F4 0FD36DDA
	v_mfma_f32_16x16x32_fp8_fp8 v[248:251], a[220:221], v[148:149], v[248:251]// 000000007D0C: D3F300F8 0FE329DC
	v_mfma_f32_16x16x32_fp8_fp8 v[248:251], a[222:223], v[150:151], v[248:251]// 000000007D14: D3F300F8 0FE32DDE
	buffer_load_dwordx4 a[92:95], v45, s[12:15], 0 offen       // 000000007D1C: E05C1000 80835C2D
	s_add_u32 s12, s78, s12                                    // 000000007D24: 800C0C4E
	s_addc_u32 s13, 0, s13                                     // 000000007D28: 820D0D80
	v_mfma_f32_16x16x32_fp8_fp8 v[252:255], a[220:221], v[180:181], v[252:255]// 000000007D2C: D3F300FC 0FF369DC
	v_mfma_f32_16x16x32_fp8_fp8 v[252:255], a[222:223], v[182:183], v[252:255]// 000000007D34: D3F300FC 0FF36DDE
	s_waitcnt vmcnt(45)                                        // 000000007D3C: BF8C8F7D
	v_mfma_f32_16x16x32_fp8_fp8 v[224:227], a[224:225], v[152:153], v[224:227]// 000000007D40: D3F300E0 0F8331E0
	v_mfma_f32_16x16x32_fp8_fp8 v[224:227], a[226:227], v[154:155], v[224:227]// 000000007D48: D3F300E0 0F8335E2
	buffer_load_dwordx4 a[96:99], v42, s[12:15], 0 offen       // 000000007D50: E05C1000 8083602A
	v_mfma_f32_16x16x32_fp8_fp8 v[228:231], a[224:225], v[184:185], v[228:231]// 000000007D58: D3F300E4 0F9371E0
	v_mfma_f32_16x16x32_fp8_fp8 v[228:231], a[226:227], v[186:187], v[228:231]// 000000007D60: D3F300E4 0F9375E2
	v_mfma_f32_16x16x32_fp8_fp8 v[232:235], a[228:229], v[152:153], v[232:235]// 000000007D68: D3F300E8 0FA331E4
	v_mfma_f32_16x16x32_fp8_fp8 v[232:235], a[230:231], v[154:155], v[232:235]// 000000007D70: D3F300E8 0FA335E6
	buffer_load_dwordx4 a[100:103], v43, s[12:15], 0 offen     // 000000007D78: E05C1000 8083642B
	v_mfma_f32_16x16x32_fp8_fp8 v[236:239], a[228:229], v[184:185], v[236:239]// 000000007D80: D3F300EC 0FB371E4
	v_mfma_f32_16x16x32_fp8_fp8 v[236:239], a[230:231], v[186:187], v[236:239]// 000000007D88: D3F300EC 0FB375E6
	v_mfma_f32_16x16x32_fp8_fp8 v[240:243], a[232:233], v[152:153], v[240:243]// 000000007D90: D3F300F0 0FC331E8
	v_mfma_f32_16x16x32_fp8_fp8 v[240:243], a[234:235], v[154:155], v[240:243]// 000000007D98: D3F300F0 0FC335EA
	buffer_load_dwordx4 a[104:107], v44, s[12:15], 0 offen     // 000000007DA0: E05C1000 8083682C
	v_mfma_f32_16x16x32_fp8_fp8 v[244:247], a[232:233], v[184:185], v[244:247]// 000000007DA8: D3F300F4 0FD371E8
	v_mfma_f32_16x16x32_fp8_fp8 v[244:247], a[234:235], v[186:187], v[244:247]// 000000007DB0: D3F300F4 0FD375EA
	v_mfma_f32_16x16x32_fp8_fp8 v[248:251], a[236:237], v[152:153], v[248:251]// 000000007DB8: D3F300F8 0FE331EC
	v_mfma_f32_16x16x32_fp8_fp8 v[248:251], a[238:239], v[154:155], v[248:251]// 000000007DC0: D3F300F8 0FE335EE
	buffer_load_dwordx4 a[108:111], v45, s[12:15], 0 offen     // 000000007DC8: E05C1000 80836C2D
	s_add_u32 s12, s78, s12                                    // 000000007DD0: 800C0C4E
	s_addc_u32 s13, 0, s13                                     // 000000007DD4: 820D0D80
	v_mfma_f32_16x16x32_fp8_fp8 v[252:255], a[236:237], v[184:185], v[252:255]// 000000007DD8: D3F300FC 0FF371EC
	v_mfma_f32_16x16x32_fp8_fp8 v[252:255], a[238:239], v[186:187], v[252:255]// 000000007DE0: D3F300FC 0FF375EE
	s_waitcnt vmcnt(44)                                        // 000000007DE8: BF8C8F7C
	v_mfma_f32_16x16x32_fp8_fp8 v[224:227], a[240:241], v[156:157], v[224:227]// 000000007DEC: D3F300E0 0F8339F0
	v_mfma_f32_16x16x32_fp8_fp8 v[224:227], a[242:243], v[158:159], v[224:227]// 000000007DF4: D3F300E0 0F833DF2
	buffer_load_dwordx4 a[112:115], v42, s[12:15], 0 offen     // 000000007DFC: E05C1000 8083702A
	v_mfma_f32_16x16x32_fp8_fp8 v[228:231], a[240:241], v[188:189], v[228:231]// 000000007E04: D3F300E4 0F9379F0
	v_mfma_f32_16x16x32_fp8_fp8 v[228:231], a[242:243], v[190:191], v[228:231]// 000000007E0C: D3F300E4 0F937DF2
	buffer_load_dword v12, v5, s[16:19], 0 offen               // 000000007E14: E0501000 80040C05
	v_mfma_f32_16x16x32_fp8_fp8 v[232:235], a[244:245], v[156:157], v[232:235]// 000000007E1C: D3F300E8 0FA339F4
	v_mfma_f32_16x16x32_fp8_fp8 v[232:235], a[246:247], v[158:159], v[232:235]// 000000007E24: D3F300E8 0FA33DF6
	buffer_load_dwordx4 a[116:119], v43, s[12:15], 0 offen     // 000000007E2C: E05C1000 8083742B
	v_mfma_f32_16x16x32_fp8_fp8 v[236:239], a[244:245], v[188:189], v[236:239]// 000000007E34: D3F300EC 0FB379F4
	v_mfma_f32_16x16x32_fp8_fp8 v[236:239], a[246:247], v[190:191], v[236:239]// 000000007E3C: D3F300EC 0FB37DF6
	v_mfma_f32_16x16x32_fp8_fp8 v[240:243], a[248:249], v[156:157], v[240:243]// 000000007E44: D3F300F0 0FC339F8
	v_mfma_f32_16x16x32_fp8_fp8 v[240:243], a[250:251], v[158:159], v[240:243]// 000000007E4C: D3F300F0 0FC33DFA
	buffer_load_dwordx4 a[120:123], v44, s[12:15], 0 offen     // 000000007E54: E05C1000 8083782C
	v_mfma_f32_16x16x32_fp8_fp8 v[244:247], a[248:249], v[188:189], v[244:247]// 000000007E5C: D3F300F4 0FD379F8
	v_mfma_f32_16x16x32_fp8_fp8 v[244:247], a[250:251], v[190:191], v[244:247]// 000000007E64: D3F300F4 0FD37DFA
	v_mfma_f32_16x16x32_fp8_fp8 v[248:251], a[252:253], v[156:157], v[248:251]// 000000007E6C: D3F300F8 0FE339FC
	v_mfma_f32_16x16x32_fp8_fp8 v[248:251], a[254:255], v[158:159], v[248:251]// 000000007E74: D3F300F8 0FE33DFE
	buffer_load_dwordx4 a[124:127], v45, s[12:15], 0 offen     // 000000007E7C: E05C1000 80837C2D
	v_mfma_f32_16x16x32_fp8_fp8 v[252:255], a[252:253], v[188:189], v[252:255]// 000000007E84: D3F300FC 0FF379FC
	v_mfma_f32_16x16x32_fp8_fp8 v[252:255], a[254:255], v[190:191], v[252:255]// 000000007E8C: D3F300FC 0FF37DFE
	s_add_u32 s60, 0x200, s80                                  // 000000007E94: 803C50FF 00000200
	s_cmp_lt_u32 s60, s81                                      // 000000007E9C: BF0A513C
	s_cselect_b32 s56, s56, 0                                  // 000000007EA0: 85388038
	s_cselect_b32 s78, s78, 0                                  // 000000007EA4: 854E804E
	s_cselect_b32 s79, s79, 0                                  // 000000007EA8: 854F804F
	s_add_u32 s12, s56, s12                                    // 000000007EAC: 800C0C38
	s_addc_u32 s13, 0, s13                                     // 000000007EB0: 820D0D80
	s_add_u32 s16, s79, s16                                    // 000000007EB4: 8010104F
	s_addc_u32 s17, 0, s17                                     // 000000007EB8: 82111180
	v_mul_f32_e32 v224, v24, v224                              // 000000007EBC: 0BC1C118
	v_mul_f32_e32 v225, v24, v225                              // 000000007EC0: 0BC3C318
	v_mul_f32_e32 v226, v24, v226                              // 000000007EC4: 0BC5C518
	v_mul_f32_e32 v227, v24, v227                              // 000000007EC8: 0BC7C718
	v_mul_f32_dpp v224, v13, v224 row_newbcast:0 row_mask:0xf bank_mask:0xf// 000000007ECC: 0BC1C0FA FF01500D
	v_mul_f32_dpp v225, v13, v225 row_newbcast:1 row_mask:0xf bank_mask:0xf// 000000007ED4: 0BC3C2FA FF01510D
	v_mul_f32_dpp v226, v13, v226 row_newbcast:2 row_mask:0xf bank_mask:0xf// 000000007EDC: 0BC5C4FA FF01520D
	v_mul_f32_dpp v227, v13, v227 row_newbcast:3 row_mask:0xf bank_mask:0xf// 000000007EE4: 0BC7C6FA FF01530D
	v_mul_f32_e32 v224, v20, v224                              // 000000007EEC: 0BC1C114
	v_mul_f32_e32 v225, v20, v225                              // 000000007EF0: 0BC3C314
	v_mul_f32_e32 v226, v20, v226                              // 000000007EF4: 0BC5C514
	v_mul_f32_e32 v227, v20, v227                              // 000000007EF8: 0BC7C714
	v_mul_f32_e32 v228, v25, v228                              // 000000007EFC: 0BC9C919
	v_mul_f32_e32 v229, v25, v229                              // 000000007F00: 0BCBCB19
	v_mul_f32_e32 v230, v25, v230                              // 000000007F04: 0BCDCD19
	v_mul_f32_e32 v231, v25, v231                              // 000000007F08: 0BCFCF19
	v_mul_f32_dpp v228, v13, v228 row_newbcast:0 row_mask:0xf bank_mask:0xf// 000000007F0C: 0BC9C8FA FF01500D
	v_mul_f32_dpp v229, v13, v229 row_newbcast:1 row_mask:0xf bank_mask:0xf// 000000007F14: 0BCBCAFA FF01510D
	v_mul_f32_dpp v230, v13, v230 row_newbcast:2 row_mask:0xf bank_mask:0xf// 000000007F1C: 0BCDCCFA FF01520D
	v_mul_f32_dpp v231, v13, v231 row_newbcast:3 row_mask:0xf bank_mask:0xf// 000000007F24: 0BCFCEFA FF01530D
	v_mul_f32_e32 v228, v21, v228                              // 000000007F2C: 0BC9C915
	v_mul_f32_e32 v229, v21, v229                              // 000000007F30: 0BCBCB15
	v_mul_f32_e32 v230, v21, v230                              // 000000007F34: 0BCDCD15
	v_mul_f32_e32 v231, v21, v231                              // 000000007F38: 0BCFCF15
	v_mul_f32_e32 v232, v24, v232                              // 000000007F3C: 0BD1D118
	v_mul_f32_e32 v233, v24, v233                              // 000000007F40: 0BD3D318
	v_mul_f32_e32 v234, v24, v234                              // 000000007F44: 0BD5D518
	v_mul_f32_e32 v235, v24, v235                              // 000000007F48: 0BD7D718
	v_mul_f32_dpp v232, v13, v232 row_newbcast:4 row_mask:0xf bank_mask:0xf// 000000007F4C: 0BD1D0FA FF01540D
	v_mul_f32_dpp v233, v13, v233 row_newbcast:5 row_mask:0xf bank_mask:0xf// 000000007F54: 0BD3D2FA FF01550D
	v_mul_f32_dpp v234, v13, v234 row_newbcast:6 row_mask:0xf bank_mask:0xf// 000000007F5C: 0BD5D4FA FF01560D
	v_mul_f32_dpp v235, v13, v235 row_newbcast:7 row_mask:0xf bank_mask:0xf// 000000007F64: 0BD7D6FA FF01570D
	v_mul_f32_e32 v232, v20, v232                              // 000000007F6C: 0BD1D114
	v_mul_f32_e32 v233, v20, v233                              // 000000007F70: 0BD3D314
	v_mul_f32_e32 v234, v20, v234                              // 000000007F74: 0BD5D514
	v_mul_f32_e32 v235, v20, v235                              // 000000007F78: 0BD7D714
	v_mul_f32_e32 v236, v25, v236                              // 000000007F7C: 0BD9D919
	v_mul_f32_e32 v237, v25, v237                              // 000000007F80: 0BDBDB19
	v_mul_f32_e32 v238, v25, v238                              // 000000007F84: 0BDDDD19
	v_mul_f32_e32 v239, v25, v239                              // 000000007F88: 0BDFDF19
	v_mul_f32_dpp v236, v13, v236 row_newbcast:4 row_mask:0xf bank_mask:0xf// 000000007F8C: 0BD9D8FA FF01540D
	v_mul_f32_dpp v237, v13, v237 row_newbcast:5 row_mask:0xf bank_mask:0xf// 000000007F94: 0BDBDAFA FF01550D
	v_mul_f32_dpp v238, v13, v238 row_newbcast:6 row_mask:0xf bank_mask:0xf// 000000007F9C: 0BDDDCFA FF01560D
	v_mul_f32_dpp v239, v13, v239 row_newbcast:7 row_mask:0xf bank_mask:0xf// 000000007FA4: 0BDFDEFA FF01570D
	v_mul_f32_e32 v236, v21, v236                              // 000000007FAC: 0BD9D915
	v_mul_f32_e32 v237, v21, v237                              // 000000007FB0: 0BDBDB15
	v_mul_f32_e32 v238, v21, v238                              // 000000007FB4: 0BDDDD15
	v_mul_f32_e32 v239, v21, v239                              // 000000007FB8: 0BDFDF15
	v_mul_f32_e32 v240, v24, v240                              // 000000007FBC: 0BE1E118
	v_mul_f32_e32 v241, v24, v241                              // 000000007FC0: 0BE3E318
	v_mul_f32_e32 v242, v24, v242                              // 000000007FC4: 0BE5E518
	v_mul_f32_e32 v243, v24, v243                              // 000000007FC8: 0BE7E718
	v_mul_f32_dpp v240, v13, v240 row_newbcast:8 row_mask:0xf bank_mask:0xf// 000000007FCC: 0BE1E0FA FF01580D
	v_mul_f32_dpp v241, v13, v241 row_newbcast:9 row_mask:0xf bank_mask:0xf// 000000007FD4: 0BE3E2FA FF01590D
	v_mul_f32_dpp v242, v13, v242 row_newbcast:10 row_mask:0xf bank_mask:0xf// 000000007FDC: 0BE5E4FA FF015A0D
	v_mul_f32_dpp v243, v13, v243 row_newbcast:11 row_mask:0xf bank_mask:0xf// 000000007FE4: 0BE7E6FA FF015B0D
	v_mul_f32_e32 v240, v20, v240                              // 000000007FEC: 0BE1E114
	v_mul_f32_e32 v241, v20, v241                              // 000000007FF0: 0BE3E314
	v_mul_f32_e32 v242, v20, v242                              // 000000007FF4: 0BE5E514
	v_mul_f32_e32 v243, v20, v243                              // 000000007FF8: 0BE7E714
	v_mul_f32_e32 v244, v25, v244                              // 000000007FFC: 0BE9E919
	v_mul_f32_e32 v245, v25, v245                              // 000000008000: 0BEBEB19
	v_mul_f32_e32 v246, v25, v246                              // 000000008004: 0BEDED19
	v_mul_f32_e32 v247, v25, v247                              // 000000008008: 0BEFEF19
	v_mul_f32_dpp v244, v13, v244 row_newbcast:8 row_mask:0xf bank_mask:0xf// 00000000800C: 0BE9E8FA FF01580D
	v_mul_f32_dpp v245, v13, v245 row_newbcast:9 row_mask:0xf bank_mask:0xf// 000000008014: 0BEBEAFA FF01590D
	v_mul_f32_dpp v246, v13, v246 row_newbcast:10 row_mask:0xf bank_mask:0xf// 00000000801C: 0BEDECFA FF015A0D
	v_mul_f32_dpp v247, v13, v247 row_newbcast:11 row_mask:0xf bank_mask:0xf// 000000008024: 0BEFEEFA FF015B0D
	v_mul_f32_e32 v244, v21, v244                              // 00000000802C: 0BE9E915
	v_mul_f32_e32 v245, v21, v245                              // 000000008030: 0BEBEB15
	v_mul_f32_e32 v246, v21, v246                              // 000000008034: 0BEDED15
	v_mul_f32_e32 v247, v21, v247                              // 000000008038: 0BEFEF15
	v_mul_f32_e32 v248, v24, v248                              // 00000000803C: 0BF1F118
	v_mul_f32_e32 v249, v24, v249                              // 000000008040: 0BF3F318
	v_mul_f32_e32 v250, v24, v250                              // 000000008044: 0BF5F518
	v_mul_f32_e32 v251, v24, v251                              // 000000008048: 0BF7F718
	v_mul_f32_dpp v248, v13, v248 row_newbcast:12 row_mask:0xf bank_mask:0xf// 00000000804C: 0BF1F0FA FF015C0D
	v_mul_f32_dpp v249, v13, v249 row_newbcast:13 row_mask:0xf bank_mask:0xf// 000000008054: 0BF3F2FA FF015D0D
	v_mul_f32_dpp v250, v13, v250 row_newbcast:14 row_mask:0xf bank_mask:0xf// 00000000805C: 0BF5F4FA FF015E0D
	v_mul_f32_dpp v251, v13, v251 row_newbcast:15 row_mask:0xf bank_mask:0xf// 000000008064: 0BF7F6FA FF015F0D
	v_mul_f32_e32 v248, v20, v248                              // 00000000806C: 0BF1F114
	v_mul_f32_e32 v249, v20, v249                              // 000000008070: 0BF3F314
	v_mul_f32_e32 v250, v20, v250                              // 000000008074: 0BF5F514
	v_mul_f32_e32 v251, v20, v251                              // 000000008078: 0BF7F714
	v_mul_f32_e32 v252, v25, v252                              // 00000000807C: 0BF9F919
	v_mul_f32_e32 v253, v25, v253                              // 000000008080: 0BFBFB19
	v_mul_f32_e32 v254, v25, v254                              // 000000008084: 0BFDFD19
	v_mul_f32_e32 v255, v25, v255                              // 000000008088: 0BFFFF19
	v_mul_f32_dpp v252, v13, v252 row_newbcast:12 row_mask:0xf bank_mask:0xf// 00000000808C: 0BF9F8FA FF015C0D
	v_mul_f32_dpp v253, v13, v253 row_newbcast:13 row_mask:0xf bank_mask:0xf// 000000008094: 0BFBFAFA FF015D0D
	v_mul_f32_dpp v254, v13, v254 row_newbcast:14 row_mask:0xf bank_mask:0xf// 00000000809C: 0BFDFCFA FF015E0D
	v_mul_f32_dpp v255, v13, v255 row_newbcast:15 row_mask:0xf bank_mask:0xf// 0000000080A4: 0BFFFEFA FF015F0D
	v_mul_f32_e32 v252, v21, v252                              // 0000000080AC: 0BF9F915
	v_mul_f32_e32 v253, v21, v253                              // 0000000080B0: 0BFBFB15
	v_mul_f32_e32 v254, v21, v254                              // 0000000080B4: 0BFDFD15
	v_mul_f32_e32 v255, v21, v255                              // 0000000080B8: 0BFFFF15
	v_cmp_u_f32_e64 s[48:49], v224, v224                       // 0000000080BC: D0480030 0003C1E0
	v_add3_u32 v46, v224, v49, 1                               // 0000000080C4: D1FF002E 020663E0
	v_cndmask_b32_e64 v52, v46, v48, s[48:49]                  // 0000000080CC: D1000034 00C2612E
	v_cmp_u_f32_e64 s[48:49], v225, v225                       // 0000000080D4: D0480030 0003C3E1
	v_add3_u32 v46, v225, v49, 1                               // 0000000080DC: D1FF002E 020663E1
	v_cndmask_b32_e64 v53, v46, v48, s[48:49]                  // 0000000080E4: D1000035 00C2612E
	v_perm_b32 v224, v53, v52, s52                             // 0000000080EC: D1ED00E0 00D26935
	v_cmp_u_f32_e64 s[48:49], v226, v226                       // 0000000080F4: D0480030 0003C5E2
	v_add3_u32 v46, v226, v49, 1                               // 0000000080FC: D1FF002E 020663E2
	v_cndmask_b32_e64 v52, v46, v48, s[48:49]                  // 000000008104: D1000034 00C2612E
	v_cmp_u_f32_e64 s[48:49], v227, v227                       // 00000000810C: D0480030 0003C7E3
	v_add3_u32 v46, v227, v49, 1                               // 000000008114: D1FF002E 020663E3
	v_cndmask_b32_e64 v53, v46, v48, s[48:49]                  // 00000000811C: D1000035 00C2612E
	v_perm_b32 v225, v53, v52, s52                             // 000000008124: D1ED00E1 00D26935
	v_cmp_u_f32_e64 s[48:49], v228, v228                       // 00000000812C: D0480030 0003C9E4
	v_add3_u32 v46, v228, v49, 1                               // 000000008134: D1FF002E 020663E4
	v_cndmask_b32_e64 v52, v46, v48, s[48:49]                  // 00000000813C: D1000034 00C2612E
	v_cmp_u_f32_e64 s[48:49], v229, v229                       // 000000008144: D0480030 0003CBE5
	v_add3_u32 v46, v229, v49, 1                               // 00000000814C: D1FF002E 020663E5
	v_cndmask_b32_e64 v53, v46, v48, s[48:49]                  // 000000008154: D1000035 00C2612E
	v_perm_b32 v226, v53, v52, s52                             // 00000000815C: D1ED00E2 00D26935
	v_cmp_u_f32_e64 s[48:49], v230, v230                       // 000000008164: D0480030 0003CDE6
	v_add3_u32 v46, v230, v49, 1                               // 00000000816C: D1FF002E 020663E6
	v_cndmask_b32_e64 v52, v46, v48, s[48:49]                  // 000000008174: D1000034 00C2612E
	v_cmp_u_f32_e64 s[48:49], v231, v231                       // 00000000817C: D0480030 0003CFE7
	v_add3_u32 v46, v231, v49, 1                               // 000000008184: D1FF002E 020663E7
	v_cndmask_b32_e64 v53, v46, v48, s[48:49]                  // 00000000818C: D1000035 00C2612E
	v_perm_b32 v227, v53, v52, s52                             // 000000008194: D1ED00E3 00D26935
	v_cmp_u_f32_e64 s[48:49], v232, v232                       // 00000000819C: D0480030 0003D1E8
	v_add3_u32 v46, v232, v49, 1                               // 0000000081A4: D1FF002E 020663E8
	v_cndmask_b32_e64 v52, v46, v48, s[48:49]                  // 0000000081AC: D1000034 00C2612E
	v_cmp_u_f32_e64 s[48:49], v233, v233                       // 0000000081B4: D0480030 0003D3E9
	v_add3_u32 v46, v233, v49, 1                               // 0000000081BC: D1FF002E 020663E9
	v_cndmask_b32_e64 v53, v46, v48, s[48:49]                  // 0000000081C4: D1000035 00C2612E
	v_perm_b32 v228, v53, v52, s52                             // 0000000081CC: D1ED00E4 00D26935
	v_cmp_u_f32_e64 s[48:49], v234, v234                       // 0000000081D4: D0480030 0003D5EA
	v_add3_u32 v46, v234, v49, 1                               // 0000000081DC: D1FF002E 020663EA
	v_cndmask_b32_e64 v52, v46, v48, s[48:49]                  // 0000000081E4: D1000034 00C2612E
	v_cmp_u_f32_e64 s[48:49], v235, v235                       // 0000000081EC: D0480030 0003D7EB
	v_add3_u32 v46, v235, v49, 1                               // 0000000081F4: D1FF002E 020663EB
	v_cndmask_b32_e64 v53, v46, v48, s[48:49]                  // 0000000081FC: D1000035 00C2612E
	v_perm_b32 v229, v53, v52, s52                             // 000000008204: D1ED00E5 00D26935
	v_cmp_u_f32_e64 s[48:49], v236, v236                       // 00000000820C: D0480030 0003D9EC
	v_add3_u32 v46, v236, v49, 1                               // 000000008214: D1FF002E 020663EC
	v_cndmask_b32_e64 v52, v46, v48, s[48:49]                  // 00000000821C: D1000034 00C2612E
	v_cmp_u_f32_e64 s[48:49], v237, v237                       // 000000008224: D0480030 0003DBED
	v_add3_u32 v46, v237, v49, 1                               // 00000000822C: D1FF002E 020663ED
	v_cndmask_b32_e64 v53, v46, v48, s[48:49]                  // 000000008234: D1000035 00C2612E
	v_perm_b32 v230, v53, v52, s52                             // 00000000823C: D1ED00E6 00D26935
	v_cmp_u_f32_e64 s[48:49], v238, v238                       // 000000008244: D0480030 0003DDEE
	v_add3_u32 v46, v238, v49, 1                               // 00000000824C: D1FF002E 020663EE
	v_cndmask_b32_e64 v52, v46, v48, s[48:49]                  // 000000008254: D1000034 00C2612E
	v_cmp_u_f32_e64 s[48:49], v239, v239                       // 00000000825C: D0480030 0003DFEF
	v_add3_u32 v46, v239, v49, 1                               // 000000008264: D1FF002E 020663EF
	v_cndmask_b32_e64 v53, v46, v48, s[48:49]                  // 00000000826C: D1000035 00C2612E
	v_perm_b32 v231, v53, v52, s52                             // 000000008274: D1ED00E7 00D26935
	v_cmp_u_f32_e64 s[48:49], v240, v240                       // 00000000827C: D0480030 0003E1F0
	v_add3_u32 v46, v240, v49, 1                               // 000000008284: D1FF002E 020663F0
	v_cndmask_b32_e64 v52, v46, v48, s[48:49]                  // 00000000828C: D1000034 00C2612E
	v_cmp_u_f32_e64 s[48:49], v241, v241                       // 000000008294: D0480030 0003E3F1
	v_add3_u32 v46, v241, v49, 1                               // 00000000829C: D1FF002E 020663F1
	v_cndmask_b32_e64 v53, v46, v48, s[48:49]                  // 0000000082A4: D1000035 00C2612E
	v_perm_b32 v232, v53, v52, s52                             // 0000000082AC: D1ED00E8 00D26935
	v_cmp_u_f32_e64 s[48:49], v242, v242                       // 0000000082B4: D0480030 0003E5F2
	v_add3_u32 v46, v242, v49, 1                               // 0000000082BC: D1FF002E 020663F2
	v_cndmask_b32_e64 v52, v46, v48, s[48:49]                  // 0000000082C4: D1000034 00C2612E
	v_cmp_u_f32_e64 s[48:49], v243, v243                       // 0000000082CC: D0480030 0003E7F3
	v_add3_u32 v46, v243, v49, 1                               // 0000000082D4: D1FF002E 020663F3
	v_cndmask_b32_e64 v53, v46, v48, s[48:49]                  // 0000000082DC: D1000035 00C2612E
	v_perm_b32 v233, v53, v52, s52                             // 0000000082E4: D1ED00E9 00D26935
	v_cmp_u_f32_e64 s[48:49], v244, v244                       // 0000000082EC: D0480030 0003E9F4
	v_add3_u32 v46, v244, v49, 1                               // 0000000082F4: D1FF002E 020663F4
	v_cndmask_b32_e64 v52, v46, v48, s[48:49]                  // 0000000082FC: D1000034 00C2612E
	v_cmp_u_f32_e64 s[48:49], v245, v245                       // 000000008304: D0480030 0003EBF5
	v_add3_u32 v46, v245, v49, 1                               // 00000000830C: D1FF002E 020663F5
	v_cndmask_b32_e64 v53, v46, v48, s[48:49]                  // 000000008314: D1000035 00C2612E
	v_perm_b32 v234, v53, v52, s52                             // 00000000831C: D1ED00EA 00D26935
	v_cmp_u_f32_e64 s[48:49], v246, v246                       // 000000008324: D0480030 0003EDF6
	v_add3_u32 v46, v246, v49, 1                               // 00000000832C: D1FF002E 020663F6
	v_cndmask_b32_e64 v52, v46, v48, s[48:49]                  // 000000008334: D1000034 00C2612E
	v_cmp_u_f32_e64 s[48:49], v247, v247                       // 00000000833C: D0480030 0003EFF7
	v_add3_u32 v46, v247, v49, 1                               // 000000008344: D1FF002E 020663F7
	v_cndmask_b32_e64 v53, v46, v48, s[48:49]                  // 00000000834C: D1000035 00C2612E
	v_perm_b32 v235, v53, v52, s52                             // 000000008354: D1ED00EB 00D26935
	v_cmp_u_f32_e64 s[48:49], v248, v248                       // 00000000835C: D0480030 0003F1F8
	v_add3_u32 v46, v248, v49, 1                               // 000000008364: D1FF002E 020663F8
	v_cndmask_b32_e64 v52, v46, v48, s[48:49]                  // 00000000836C: D1000034 00C2612E
	v_cmp_u_f32_e64 s[48:49], v249, v249                       // 000000008374: D0480030 0003F3F9
	v_add3_u32 v46, v249, v49, 1                               // 00000000837C: D1FF002E 020663F9
	v_cndmask_b32_e64 v53, v46, v48, s[48:49]                  // 000000008384: D1000035 00C2612E
	v_perm_b32 v236, v53, v52, s52                             // 00000000838C: D1ED00EC 00D26935
	v_cmp_u_f32_e64 s[48:49], v250, v250                       // 000000008394: D0480030 0003F5FA
	v_add3_u32 v46, v250, v49, 1                               // 00000000839C: D1FF002E 020663FA
	v_cndmask_b32_e64 v52, v46, v48, s[48:49]                  // 0000000083A4: D1000034 00C2612E
	v_cmp_u_f32_e64 s[48:49], v251, v251                       // 0000000083AC: D0480030 0003F7FB
	v_add3_u32 v46, v251, v49, 1                               // 0000000083B4: D1FF002E 020663FB
	v_cndmask_b32_e64 v53, v46, v48, s[48:49]                  // 0000000083BC: D1000035 00C2612E
	v_perm_b32 v237, v53, v52, s52                             // 0000000083C4: D1ED00ED 00D26935
	v_cmp_u_f32_e64 s[48:49], v252, v252                       // 0000000083CC: D0480030 0003F9FC
	v_add3_u32 v46, v252, v49, 1                               // 0000000083D4: D1FF002E 020663FC
	v_cndmask_b32_e64 v52, v46, v48, s[48:49]                  // 0000000083DC: D1000034 00C2612E
	v_cmp_u_f32_e64 s[48:49], v253, v253                       // 0000000083E4: D0480030 0003FBFD
	v_add3_u32 v46, v253, v49, 1                               // 0000000083EC: D1FF002E 020663FD
	v_cndmask_b32_e64 v53, v46, v48, s[48:49]                  // 0000000083F4: D1000035 00C2612E
	v_perm_b32 v238, v53, v52, s52                             // 0000000083FC: D1ED00EE 00D26935
	v_cmp_u_f32_e64 s[48:49], v254, v254                       // 000000008404: D0480030 0003FDFE
	v_add3_u32 v46, v254, v49, 1                               // 00000000840C: D1FF002E 020663FE
	v_cndmask_b32_e64 v52, v46, v48, s[48:49]                  // 000000008414: D1000034 00C2612E
	v_cmp_u_f32_e64 s[48:49], v255, v255                       // 00000000841C: D0480030 0003FFFF
	v_add3_u32 v46, v255, v49, 1                               // 000000008424: D1FF002E 020663FF
	v_cndmask_b32_e64 v53, v46, v48, s[48:49]                  // 00000000842C: D1000035 00C2612E
	v_perm_b32 v239, v53, v52, s52                             // 000000008434: D1ED00EF 00D26935
	ds_write_b64 v3, v[224:225] offset:35072                   // 00000000843C: D89A8900 0000E003
	ds_write_b64 v3, v[226:227] offset:43776                   // 000000008444: D89AAB00 0000E203
	ds_write_b64 v3, v[228:229] offset:37248                   // 00000000844C: D89A9180 0000E403
	ds_write_b64 v3, v[230:231] offset:45952                   // 000000008454: D89AB380 0000E603
	ds_write_b64 v3, v[232:233] offset:39424                   // 00000000845C: D89A9A00 0000E803
	ds_write_b64 v3, v[234:235] offset:48128                   // 000000008464: D89ABC00 0000EA03
	ds_write_b64 v3, v[236:237] offset:41600                   // 00000000846C: D89AA280 0000EC03
	ds_write_b64 v3, v[238:239] offset:50304                   // 000000008474: D89AC480 0000EE03
	s_waitcnt lgkmcnt(0)                                       // 00000000847C: BF8CC07F
	s_barrier                                                  // 000000008480: BF8A0000
	ds_read_b32 v64, v4 offset:35072                           // 000000008484: D86C8900 40000004
	ds_read_b32 v65, v4 offset:39424                           // 00000000848C: D86C9A00 41000004
	ds_read_b32 v66, v4 offset:35104                           // 000000008494: D86C8920 42000004
	ds_read_b32 v67, v4 offset:39456                           // 00000000849C: D86C9A20 43000004
	ds_read_b32 v68, v4 offset:35136                           // 0000000084A4: D86C8940 44000004
	ds_read_b32 v69, v4 offset:39488                           // 0000000084AC: D86C9A40 45000004
	ds_read_b32 v70, v4 offset:35168                           // 0000000084B4: D86C8960 46000004
	ds_read_b32 v71, v4 offset:39520                           // 0000000084BC: D86C9A60 47000004
	ds_read_b32 v72, v4 offset:43776                           // 0000000084C4: D86CAB00 48000004
	ds_read_b32 v73, v4 offset:48128                           // 0000000084CC: D86CBC00 49000004
	ds_read_b32 v74, v4 offset:43808                           // 0000000084D4: D86CAB20 4A000004
	ds_read_b32 v75, v4 offset:48160                           // 0000000084DC: D86CBC20 4B000004
	ds_read_b32 v76, v4 offset:43840                           // 0000000084E4: D86CAB40 4C000004
	ds_read_b32 v77, v4 offset:48192                           // 0000000084EC: D86CBC40 4D000004
	ds_read_b32 v78, v4 offset:43872                           // 0000000084F4: D86CAB60 4E000004
	ds_read_b32 v79, v4 offset:48224                           // 0000000084FC: D86CBC60 4F000004
	s_waitcnt lgkmcnt(0)                                       // 000000008504: BF8CC07F
	s_mov_b64 exec, s[20:21]                                   // 000000008508: BEFE0114
	global_atomic_pk_add_bf16 v80, v64, s[8:9]                 // 00000000850C: DD488000 00084050
	s_mov_b64 exec, s[36:37]                                   // 000000008514: BEFE0124
	s_mov_b64 exec, s[20:21]                                   // 000000008518: BEFE0114
	global_atomic_pk_add_bf16 v80, v65, s[8:9] offset:256      // 00000000851C: DD488100 00084150
	s_mov_b64 exec, s[36:37]                                   // 000000008524: BEFE0124
	s_mov_b64 exec, s[22:23]                                   // 000000008528: BEFE0116
	global_atomic_pk_add_bf16 v82, v66, s[8:9]                 // 00000000852C: DD488000 00084252
	s_mov_b64 exec, s[36:37]                                   // 000000008534: BEFE0124
	s_mov_b64 exec, s[22:23]                                   // 000000008538: BEFE0116
	global_atomic_pk_add_bf16 v82, v67, s[8:9] offset:256      // 00000000853C: DD488100 00084352
	s_mov_b64 exec, s[36:37]                                   // 000000008544: BEFE0124
	s_mov_b64 exec, s[24:25]                                   // 000000008548: BEFE0118
	global_atomic_pk_add_bf16 v84, v68, s[8:9]                 // 00000000854C: DD488000 00084454
	s_mov_b64 exec, s[36:37]                                   // 000000008554: BEFE0124
	s_mov_b64 exec, s[24:25]                                   // 000000008558: BEFE0118
	global_atomic_pk_add_bf16 v84, v69, s[8:9] offset:256      // 00000000855C: DD488100 00084554
	s_mov_b64 exec, s[36:37]                                   // 000000008564: BEFE0124
	s_mov_b64 exec, s[26:27]                                   // 000000008568: BEFE011A
	global_atomic_pk_add_bf16 v86, v70, s[8:9]                 // 00000000856C: DD488000 00084656
	s_mov_b64 exec, s[36:37]                                   // 000000008574: BEFE0124
	s_mov_b64 exec, s[26:27]                                   // 000000008578: BEFE011A
	global_atomic_pk_add_bf16 v86, v71, s[8:9] offset:256      // 00000000857C: DD488100 00084756
	s_mov_b64 exec, s[36:37]                                   // 000000008584: BEFE0124
	s_mov_b64 exec, s[28:29]                                   // 000000008588: BEFE011C
	global_atomic_pk_add_bf16 v88, v72, s[8:9]                 // 00000000858C: DD488000 00084858
	s_mov_b64 exec, s[36:37]                                   // 000000008594: BEFE0124
	s_mov_b64 exec, s[28:29]                                   // 000000008598: BEFE011C
	global_atomic_pk_add_bf16 v88, v73, s[8:9] offset:256      // 00000000859C: DD488100 00084958
	s_mov_b64 exec, s[36:37]                                   // 0000000085A4: BEFE0124
	s_mov_b64 exec, s[30:31]                                   // 0000000085A8: BEFE011E
	global_atomic_pk_add_bf16 v90, v74, s[8:9]                 // 0000000085AC: DD488000 00084A5A
	s_mov_b64 exec, s[36:37]                                   // 0000000085B4: BEFE0124
	s_mov_b64 exec, s[30:31]                                   // 0000000085B8: BEFE011E
	global_atomic_pk_add_bf16 v90, v75, s[8:9] offset:256      // 0000000085BC: DD488100 00084B5A
	s_mov_b64 exec, s[36:37]                                   // 0000000085C4: BEFE0124
	s_mov_b64 exec, s[32:33]                                   // 0000000085C8: BEFE0120
	global_atomic_pk_add_bf16 v92, v76, s[8:9]                 // 0000000085CC: DD488000 00084C5C
	s_mov_b64 exec, s[36:37]                                   // 0000000085D4: BEFE0124
	s_mov_b64 exec, s[32:33]                                   // 0000000085D8: BEFE0120
	global_atomic_pk_add_bf16 v92, v77, s[8:9] offset:256      // 0000000085DC: DD488100 00084D5C
	s_mov_b64 exec, s[36:37]                                   // 0000000085E4: BEFE0124
	s_mov_b64 exec, s[34:35]                                   // 0000000085E8: BEFE0122
	global_atomic_pk_add_bf16 v94, v78, s[8:9]                 // 0000000085EC: DD488000 00084E5E
	s_mov_b64 exec, s[36:37]                                   // 0000000085F4: BEFE0124
	s_mov_b64 exec, s[34:35]                                   // 0000000085F8: BEFE0122
	global_atomic_pk_add_bf16 v94, v79, s[8:9] offset:256      // 0000000085FC: DD488100 00084F5E
	s_mov_b64 exec, s[36:37]                                   // 000000008604: BEFE0124
	s_add_u32 s8, s59, s8                                      // 000000008608: 8008083B
	s_addc_u32 s9, 0, s9                                       // 00000000860C: 82090980
	s_addk_i32 s80, 0x100                                      // 000000008610: B7500100
	s_cmp_lt_i32 s80, s81                                      // 000000008614: BF045150
	s_cbranch_scc0 label_1608                                  // 000000008618: BF840001
	s_branch label_0F91                                        // 00000000861C: BF82F989

0000000000008620 <label_1608>:
	s_nop 0                                                    // 000000008620: BF800000
	s_nop 0                                                    // 000000008624: BF800000
	s_branch label_2941                                        // 000000008628: BF821336

000000000000862c <label_160B>:
	s_waitcnt vmcnt(24) lgkmcnt(0)                             // 00000000862C: BF8C4078
	s_barrier                                                  // 000000008630: BF8A0000
	v_mfma_f32_16x16x32_fp8_fp8 v[128:131], a[0:1], v[192:193], v[128:131]// 000000008634: D3F30080 0E038100
	buffer_load_dwordx4 a[128:131], v34, s[92:95], 0 offen     // 00000000863C: E05C1000 80978022
	v_mfma_f32_16x16x32_fp8_fp8 v[128:131], a[2:3], v[194:195], v[128:131]// 000000008644: D3F30080 0E038502
	v_mfma_f32_16x16x32_fp8_fp8 v[128:131], a[4:5], v[196:197], v[128:131]// 00000000864C: D3F30080 0E038904
	buffer_load_dword v26, s[20:23], 0 offen lds               // 000000008654: E0511000 8005001A
	s_add_u32 m0, 0x100, s51                                   // 00000000865C: 807C33FF 00000100
	v_mfma_f32_16x16x32_fp8_fp8 v[128:131], a[6:7], v[198:199], v[128:131]// 000000008664: D3F30080 0E038D06
	v_mfma_f32_16x16x32_fp8_fp8 v[128:131], a[8:9], v[200:201], v[128:131]// 00000000866C: D3F30080 0E039108
	buffer_load_dwordx4 a[132:135], v34, s[92:95], 0 offen offset:1024// 000000008674: E05C1400 80978422
	v_mfma_f32_16x16x32_fp8_fp8 v[128:131], a[10:11], v[202:203], v[128:131]// 00000000867C: D3F30080 0E03950A
	v_mfma_f32_16x16x32_fp8_fp8 v[128:131], a[12:13], v[204:205], v[128:131]// 000000008684: D3F30080 0E03990C
	buffer_load_dword v27, s[20:23], 0 offen lds               // 00000000868C: E0511000 8005001B
	s_add_u32 m0, 0x200, s51                                   // 000000008694: 807C33FF 00000200
	v_mfma_f32_16x16x32_fp8_fp8 v[128:131], a[14:15], v[206:207], v[128:131]// 00000000869C: D3F30080 0E039D0E
	v_mfma_f32_16x16x32_fp8_fp8 v[132:135], a[0:1], v[208:209], v[132:135]// 0000000086A4: D3F30084 0E13A100
	buffer_load_dwordx4 a[136:139], v34, s[92:95], 0 offen offset:2048// 0000000086AC: E05C1800 80978822
	v_mfma_f32_16x16x32_fp8_fp8 v[132:135], a[2:3], v[210:211], v[132:135]// 0000000086B4: D3F30084 0E13A502
	v_mfma_f32_16x16x32_fp8_fp8 v[132:135], a[4:5], v[212:213], v[132:135]// 0000000086BC: D3F30084 0E13A904
	buffer_load_dword v28, s[20:23], 0 offen lds               // 0000000086C4: E0511000 8005001C
	s_add_u32 m0, 0x300, s51                                   // 0000000086CC: 807C33FF 00000300
	v_mfma_f32_16x16x32_fp8_fp8 v[132:135], a[6:7], v[214:215], v[132:135]// 0000000086D4: D3F30084 0E13AD06
	v_mfma_f32_16x16x32_fp8_fp8 v[132:135], a[8:9], v[216:217], v[132:135]// 0000000086DC: D3F30084 0E13B108
	buffer_load_dwordx4 a[140:143], v34, s[92:95], 0 offen offset:3072// 0000000086E4: E05C1C00 80978C22
	v_mfma_f32_16x16x32_fp8_fp8 v[132:135], a[10:11], v[218:219], v[132:135]// 0000000086EC: D3F30084 0E13B50A
	v_mfma_f32_16x16x32_fp8_fp8 v[132:135], a[12:13], v[220:221], v[132:135]// 0000000086F4: D3F30084 0E13B90C
	buffer_load_dword v29, s[20:23], 0 offen lds               // 0000000086FC: E0511000 8005001D
	s_add_u32 m0, 0x400, s51                                   // 000000008704: 807C33FF 00000400
	v_mfma_f32_16x16x32_fp8_fp8 v[132:135], a[14:15], v[222:223], v[132:135]// 00000000870C: D3F30084 0E13BD0E
	v_mfma_f32_16x16x32_fp8_fp8 v[136:139], a[16:17], v[192:193], v[136:139]// 000000008714: D3F30088 0E238110
	buffer_load_dwordx4 a[144:147], v35, s[92:95], 0 offen     // 00000000871C: E05C1000 80979023
	v_mfma_f32_16x16x32_fp8_fp8 v[136:139], a[18:19], v[194:195], v[136:139]// 000000008724: D3F30088 0E238512
	v_mfma_f32_16x16x32_fp8_fp8 v[136:139], a[20:21], v[196:197], v[136:139]// 00000000872C: D3F30088 0E238914
	buffer_load_dword v30, s[20:23], 0 offen lds               // 000000008734: E0511000 8005001E
	s_add_u32 m0, 0x500, s51                                   // 00000000873C: 807C33FF 00000500
	v_mfma_f32_16x16x32_fp8_fp8 v[136:139], a[22:23], v[198:199], v[136:139]// 000000008744: D3F30088 0E238D16
	v_mfma_f32_16x16x32_fp8_fp8 v[136:139], a[24:25], v[200:201], v[136:139]// 00000000874C: D3F30088 0E239118
	buffer_load_dwordx4 a[148:151], v35, s[92:95], 0 offen offset:1024// 000000008754: E05C1400 80979423
	v_mfma_f32_16x16x32_fp8_fp8 v[136:139], a[26:27], v[202:203], v[136:139]// 00000000875C: D3F30088 0E23951A
	v_mfma_f32_16x16x32_fp8_fp8 v[136:139], a[28:29], v[204:205], v[136:139]// 000000008764: D3F30088 0E23991C
	buffer_load_dword v31, s[20:23], 0 offen lds               // 00000000876C: E0511000 8005001F
	s_add_u32 m0, 0x600, s51                                   // 000000008774: 807C33FF 00000600
	v_mfma_f32_16x16x32_fp8_fp8 v[136:139], a[30:31], v[206:207], v[136:139]// 00000000877C: D3F30088 0E239D1E
	v_mfma_f32_16x16x32_fp8_fp8 v[140:143], a[16:17], v[208:209], v[140:143]// 000000008784: D3F3008C 0E33A110
	buffer_load_dwordx4 a[152:155], v35, s[92:95], 0 offen offset:2048// 00000000878C: E05C1800 80979823
	v_mfma_f32_16x16x32_fp8_fp8 v[140:143], a[18:19], v[210:211], v[140:143]// 000000008794: D3F3008C 0E33A512
	v_mfma_f32_16x16x32_fp8_fp8 v[140:143], a[20:21], v[212:213], v[140:143]// 00000000879C: D3F3008C 0E33A914
	buffer_load_dword v32, s[20:23], 0 offen lds               // 0000000087A4: E0511000 80050020
	s_add_u32 m0, 0x700, s51                                   // 0000000087AC: 807C33FF 00000700
	v_mfma_f32_16x16x32_fp8_fp8 v[140:143], a[22:23], v[214:215], v[140:143]// 0000000087B4: D3F3008C 0E33AD16
	v_mfma_f32_16x16x32_fp8_fp8 v[140:143], a[24:25], v[216:217], v[140:143]// 0000000087BC: D3F3008C 0E33B118
	buffer_load_dwordx4 a[156:159], v35, s[92:95], 0 offen offset:3072// 0000000087C4: E05C1C00 80979C23
	v_mfma_f32_16x16x32_fp8_fp8 v[140:143], a[26:27], v[218:219], v[140:143]// 0000000087CC: D3F3008C 0E33B51A
	v_mfma_f32_16x16x32_fp8_fp8 v[140:143], a[28:29], v[220:221], v[140:143]// 0000000087D4: D3F3008C 0E33B91C
	buffer_load_dword v33, s[20:23], 0 offen lds               // 0000000087DC: E0511000 80050021
	s_add_u32 m0, 0, s50                                       // 0000000087E4: 807C3280
	v_mfma_f32_16x16x32_fp8_fp8 v[140:143], a[30:31], v[222:223], v[140:143]// 0000000087E8: D3F3008C 0E33BD1E
	s_waitcnt vmcnt(36)                                        // 0000000087F0: BF8C8F74
	v_mfma_f32_16x16x32_fp8_fp8 v[144:147], a[32:33], v[192:193], v[144:147]// 0000000087F4: D3F30090 0E438120
	buffer_load_dwordx4 a[160:163], v36, s[92:95], 0 offen     // 0000000087FC: E05C1000 8097A024
	v_mfma_f32_16x16x32_fp8_fp8 v[144:147], a[34:35], v[194:195], v[144:147]// 000000008804: D3F30090 0E438522
	v_mfma_f32_16x16x32_fp8_fp8 v[144:147], a[36:37], v[196:197], v[144:147]// 00000000880C: D3F30090 0E438924
	v_mfma_f32_16x16x32_fp8_fp8 v[144:147], a[38:39], v[198:199], v[144:147]// 000000008814: D3F30090 0E438D26
	v_mfma_f32_16x16x32_fp8_fp8 v[144:147], a[40:41], v[200:201], v[144:147]// 00000000881C: D3F30090 0E439128
	buffer_load_dwordx4 a[164:167], v36, s[92:95], 0 offen offset:1024// 000000008824: E05C1400 8097A424
	v_mfma_f32_16x16x32_fp8_fp8 v[144:147], a[42:43], v[202:203], v[144:147]// 00000000882C: D3F30090 0E43952A
	v_mfma_f32_16x16x32_fp8_fp8 v[144:147], a[44:45], v[204:205], v[144:147]// 000000008834: D3F30090 0E43992C
	v_mfma_f32_16x16x32_fp8_fp8 v[144:147], a[46:47], v[206:207], v[144:147]// 00000000883C: D3F30090 0E439D2E
	v_mfma_f32_16x16x32_fp8_fp8 v[148:151], a[32:33], v[208:209], v[148:151]// 000000008844: D3F30094 0E53A120
	buffer_load_dwordx4 a[168:171], v36, s[92:95], 0 offen offset:2048// 00000000884C: E05C1800 8097A824
	v_mfma_f32_16x16x32_fp8_fp8 v[148:151], a[34:35], v[210:211], v[148:151]// 000000008854: D3F30094 0E53A522
	v_mfma_f32_16x16x32_fp8_fp8 v[148:151], a[36:37], v[212:213], v[148:151]// 00000000885C: D3F30094 0E53A924
	v_mfma_f32_16x16x32_fp8_fp8 v[148:151], a[38:39], v[214:215], v[148:151]// 000000008864: D3F30094 0E53AD26
	v_mfma_f32_16x16x32_fp8_fp8 v[148:151], a[40:41], v[216:217], v[148:151]// 00000000886C: D3F30094 0E53B128
	buffer_load_dwordx4 a[172:175], v36, s[92:95], 0 offen offset:3072// 000000008874: E05C1C00 8097AC24
	v_mfma_f32_16x16x32_fp8_fp8 v[148:151], a[42:43], v[218:219], v[148:151]// 00000000887C: D3F30094 0E53B52A
	v_mfma_f32_16x16x32_fp8_fp8 v[148:151], a[44:45], v[220:221], v[148:151]// 000000008884: D3F30094 0E53B92C
	v_mfma_f32_16x16x32_fp8_fp8 v[148:151], a[46:47], v[222:223], v[148:151]// 00000000888C: D3F30094 0E53BD2E
	s_waitcnt vmcnt(36)                                        // 000000008894: BF8C8F74
	v_mfma_f32_16x16x32_fp8_fp8 v[152:155], a[48:49], v[192:193], v[152:155]// 000000008898: D3F30098 0E638130
	buffer_load_dwordx4 a[176:179], v37, s[92:95], 0 offen     // 0000000088A0: E05C1000 8097B025
	v_mfma_f32_16x16x32_fp8_fp8 v[152:155], a[50:51], v[194:195], v[152:155]// 0000000088A8: D3F30098 0E638532
	v_mfma_f32_16x16x32_fp8_fp8 v[152:155], a[52:53], v[196:197], v[152:155]// 0000000088B0: D3F30098 0E638934
	v_mfma_f32_16x16x32_fp8_fp8 v[152:155], a[54:55], v[198:199], v[152:155]// 0000000088B8: D3F30098 0E638D36
	v_mfma_f32_16x16x32_fp8_fp8 v[152:155], a[56:57], v[200:201], v[152:155]// 0000000088C0: D3F30098 0E639138
	buffer_load_dwordx4 a[180:183], v37, s[92:95], 0 offen offset:1024// 0000000088C8: E05C1400 8097B425
	v_mfma_f32_16x16x32_fp8_fp8 v[152:155], a[58:59], v[202:203], v[152:155]// 0000000088D0: D3F30098 0E63953A
	v_mfma_f32_16x16x32_fp8_fp8 v[152:155], a[60:61], v[204:205], v[152:155]// 0000000088D8: D3F30098 0E63993C
	v_mfma_f32_16x16x32_fp8_fp8 v[152:155], a[62:63], v[206:207], v[152:155]// 0000000088E0: D3F30098 0E639D3E
	v_mfma_f32_16x16x32_fp8_fp8 v[156:159], a[48:49], v[208:209], v[156:159]// 0000000088E8: D3F3009C 0E73A130
	buffer_load_dwordx4 a[184:187], v37, s[92:95], 0 offen offset:2048// 0000000088F0: E05C1800 8097B825
	v_mfma_f32_16x16x32_fp8_fp8 v[156:159], a[50:51], v[210:211], v[156:159]// 0000000088F8: D3F3009C 0E73A532
	v_mfma_f32_16x16x32_fp8_fp8 v[156:159], a[52:53], v[212:213], v[156:159]// 000000008900: D3F3009C 0E73A934
	v_mfma_f32_16x16x32_fp8_fp8 v[156:159], a[54:55], v[214:215], v[156:159]// 000000008908: D3F3009C 0E73AD36
	v_mfma_f32_16x16x32_fp8_fp8 v[156:159], a[56:57], v[216:217], v[156:159]// 000000008910: D3F3009C 0E73B138
	buffer_load_dwordx4 a[188:191], v37, s[92:95], 0 offen offset:3072// 000000008918: E05C1C00 8097BC25
	v_mfma_f32_16x16x32_fp8_fp8 v[156:159], a[58:59], v[218:219], v[156:159]// 000000008920: D3F3009C 0E73B53A
	v_mfma_f32_16x16x32_fp8_fp8 v[156:159], a[60:61], v[220:221], v[156:159]// 000000008928: D3F3009C 0E73B93C
	v_mfma_f32_16x16x32_fp8_fp8 v[156:159], a[62:63], v[222:223], v[156:159]// 000000008930: D3F3009C 0E73BD3E
	s_waitcnt vmcnt(36)                                        // 000000008938: BF8C8F74
	v_mfma_f32_16x16x32_fp8_fp8 v[160:163], a[64:65], v[192:193], v[160:163]// 00000000893C: D3F300A0 0E838140
	buffer_load_dwordx4 a[192:195], v38, s[92:95], 0 offen     // 000000008944: E05C1000 8097C026
	v_mfma_f32_16x16x32_fp8_fp8 v[160:163], a[66:67], v[194:195], v[160:163]// 00000000894C: D3F300A0 0E838542
	v_mfma_f32_16x16x32_fp8_fp8 v[160:163], a[68:69], v[196:197], v[160:163]// 000000008954: D3F300A0 0E838944
	v_mfma_f32_16x16x32_fp8_fp8 v[160:163], a[70:71], v[198:199], v[160:163]// 00000000895C: D3F300A0 0E838D46
	v_mfma_f32_16x16x32_fp8_fp8 v[160:163], a[72:73], v[200:201], v[160:163]// 000000008964: D3F300A0 0E839148
	buffer_load_dwordx4 a[196:199], v38, s[92:95], 0 offen offset:1024// 00000000896C: E05C1400 8097C426
	v_mfma_f32_16x16x32_fp8_fp8 v[160:163], a[74:75], v[202:203], v[160:163]// 000000008974: D3F300A0 0E83954A
	v_mfma_f32_16x16x32_fp8_fp8 v[160:163], a[76:77], v[204:205], v[160:163]// 00000000897C: D3F300A0 0E83994C
	v_mfma_f32_16x16x32_fp8_fp8 v[160:163], a[78:79], v[206:207], v[160:163]// 000000008984: D3F300A0 0E839D4E
	v_mfma_f32_16x16x32_fp8_fp8 v[164:167], a[64:65], v[208:209], v[164:167]// 00000000898C: D3F300A4 0E93A140
	buffer_load_dwordx4 a[200:203], v38, s[92:95], 0 offen offset:2048// 000000008994: E05C1800 8097C826
	v_mfma_f32_16x16x32_fp8_fp8 v[164:167], a[66:67], v[210:211], v[164:167]// 00000000899C: D3F300A4 0E93A542
	v_mfma_f32_16x16x32_fp8_fp8 v[164:167], a[68:69], v[212:213], v[164:167]// 0000000089A4: D3F300A4 0E93A944
	v_mfma_f32_16x16x32_fp8_fp8 v[164:167], a[70:71], v[214:215], v[164:167]// 0000000089AC: D3F300A4 0E93AD46
	v_mfma_f32_16x16x32_fp8_fp8 v[164:167], a[72:73], v[216:217], v[164:167]// 0000000089B4: D3F300A4 0E93B148
	buffer_load_dwordx4 a[204:207], v38, s[92:95], 0 offen offset:3072// 0000000089BC: E05C1C00 8097CC26
	v_mfma_f32_16x16x32_fp8_fp8 v[164:167], a[74:75], v[218:219], v[164:167]// 0000000089C4: D3F300A4 0E93B54A
	v_mfma_f32_16x16x32_fp8_fp8 v[164:167], a[76:77], v[220:221], v[164:167]// 0000000089CC: D3F300A4 0E93B94C
	v_mfma_f32_16x16x32_fp8_fp8 v[164:167], a[78:79], v[222:223], v[164:167]// 0000000089D4: D3F300A4 0E93BD4E
	s_waitcnt vmcnt(36)                                        // 0000000089DC: BF8C8F74
	v_mfma_f32_16x16x32_fp8_fp8 v[168:171], a[80:81], v[192:193], v[168:171]// 0000000089E0: D3F300A8 0EA38150
	buffer_load_dwordx4 a[208:211], v39, s[92:95], 0 offen     // 0000000089E8: E05C1000 8097D027
	v_mfma_f32_16x16x32_fp8_fp8 v[168:171], a[82:83], v[194:195], v[168:171]// 0000000089F0: D3F300A8 0EA38552
	v_mfma_f32_16x16x32_fp8_fp8 v[168:171], a[84:85], v[196:197], v[168:171]// 0000000089F8: D3F300A8 0EA38954
	v_mfma_f32_16x16x32_fp8_fp8 v[168:171], a[86:87], v[198:199], v[168:171]// 000000008A00: D3F300A8 0EA38D56
	v_mfma_f32_16x16x32_fp8_fp8 v[168:171], a[88:89], v[200:201], v[168:171]// 000000008A08: D3F300A8 0EA39158
	buffer_load_dwordx4 a[212:215], v39, s[92:95], 0 offen offset:1024// 000000008A10: E05C1400 8097D427
	v_mfma_f32_16x16x32_fp8_fp8 v[168:171], a[90:91], v[202:203], v[168:171]// 000000008A18: D3F300A8 0EA3955A
	v_mfma_f32_16x16x32_fp8_fp8 v[168:171], a[92:93], v[204:205], v[168:171]// 000000008A20: D3F300A8 0EA3995C
	v_mfma_f32_16x16x32_fp8_fp8 v[168:171], a[94:95], v[206:207], v[168:171]// 000000008A28: D3F300A8 0EA39D5E
	v_mfma_f32_16x16x32_fp8_fp8 v[172:175], a[80:81], v[208:209], v[172:175]// 000000008A30: D3F300AC 0EB3A150
	buffer_load_dwordx4 a[216:219], v39, s[92:95], 0 offen offset:2048// 000000008A38: E05C1800 8097D827
	v_mfma_f32_16x16x32_fp8_fp8 v[172:175], a[82:83], v[210:211], v[172:175]// 000000008A40: D3F300AC 0EB3A552
	v_mfma_f32_16x16x32_fp8_fp8 v[172:175], a[84:85], v[212:213], v[172:175]// 000000008A48: D3F300AC 0EB3A954
	v_mfma_f32_16x16x32_fp8_fp8 v[172:175], a[86:87], v[214:215], v[172:175]// 000000008A50: D3F300AC 0EB3AD56
	v_mfma_f32_16x16x32_fp8_fp8 v[172:175], a[88:89], v[216:217], v[172:175]// 000000008A58: D3F300AC 0EB3B158
	buffer_load_dwordx4 a[220:223], v39, s[92:95], 0 offen offset:3072// 000000008A60: E05C1C00 8097DC27
	v_mfma_f32_16x16x32_fp8_fp8 v[172:175], a[90:91], v[218:219], v[172:175]// 000000008A68: D3F300AC 0EB3B55A
	v_mfma_f32_16x16x32_fp8_fp8 v[172:175], a[92:93], v[220:221], v[172:175]// 000000008A70: D3F300AC 0EB3B95C
	v_mfma_f32_16x16x32_fp8_fp8 v[172:175], a[94:95], v[222:223], v[172:175]// 000000008A78: D3F300AC 0EB3BD5E
	s_waitcnt vmcnt(36)                                        // 000000008A80: BF8C8F74
	v_mfma_f32_16x16x32_fp8_fp8 v[176:179], a[96:97], v[192:193], v[176:179]// 000000008A84: D3F300B0 0EC38160
	buffer_load_dwordx4 a[224:227], v40, s[92:95], 0 offen     // 000000008A8C: E05C1000 8097E028
	v_mfma_f32_16x16x32_fp8_fp8 v[176:179], a[98:99], v[194:195], v[176:179]// 000000008A94: D3F300B0 0EC38562
	v_mfma_f32_16x16x32_fp8_fp8 v[176:179], a[100:101], v[196:197], v[176:179]// 000000008A9C: D3F300B0 0EC38964
	v_mfma_f32_16x16x32_fp8_fp8 v[176:179], a[102:103], v[198:199], v[176:179]// 000000008AA4: D3F300B0 0EC38D66
	v_mfma_f32_16x16x32_fp8_fp8 v[176:179], a[104:105], v[200:201], v[176:179]// 000000008AAC: D3F300B0 0EC39168
	buffer_load_dwordx4 a[228:231], v40, s[92:95], 0 offen offset:1024// 000000008AB4: E05C1400 8097E428
	v_mfma_f32_16x16x32_fp8_fp8 v[176:179], a[106:107], v[202:203], v[176:179]// 000000008ABC: D3F300B0 0EC3956A
	v_mfma_f32_16x16x32_fp8_fp8 v[176:179], a[108:109], v[204:205], v[176:179]// 000000008AC4: D3F300B0 0EC3996C
	v_mfma_f32_16x16x32_fp8_fp8 v[176:179], a[110:111], v[206:207], v[176:179]// 000000008ACC: D3F300B0 0EC39D6E
	v_mfma_f32_16x16x32_fp8_fp8 v[180:183], a[96:97], v[208:209], v[180:183]// 000000008AD4: D3F300B4 0ED3A160
	buffer_load_dwordx4 a[232:235], v40, s[92:95], 0 offen offset:2048// 000000008ADC: E05C1800 8097E828
	v_mfma_f32_16x16x32_fp8_fp8 v[180:183], a[98:99], v[210:211], v[180:183]// 000000008AE4: D3F300B4 0ED3A562
	v_mfma_f32_16x16x32_fp8_fp8 v[180:183], a[100:101], v[212:213], v[180:183]// 000000008AEC: D3F300B4 0ED3A964
	v_mfma_f32_16x16x32_fp8_fp8 v[180:183], a[102:103], v[214:215], v[180:183]// 000000008AF4: D3F300B4 0ED3AD66
	v_mfma_f32_16x16x32_fp8_fp8 v[180:183], a[104:105], v[216:217], v[180:183]// 000000008AFC: D3F300B4 0ED3B168
	buffer_load_dwordx4 a[236:239], v40, s[92:95], 0 offen offset:3072// 000000008B04: E05C1C00 8097EC28
	v_mfma_f32_16x16x32_fp8_fp8 v[180:183], a[106:107], v[218:219], v[180:183]// 000000008B0C: D3F300B4 0ED3B56A
	v_mfma_f32_16x16x32_fp8_fp8 v[180:183], a[108:109], v[220:221], v[180:183]// 000000008B14: D3F300B4 0ED3B96C
	v_mfma_f32_16x16x32_fp8_fp8 v[180:183], a[110:111], v[222:223], v[180:183]// 000000008B1C: D3F300B4 0ED3BD6E
	s_waitcnt vmcnt(36)                                        // 000000008B24: BF8C8F74
	v_mfma_f32_16x16x32_fp8_fp8 v[184:187], a[112:113], v[192:193], v[184:187]// 000000008B28: D3F300B8 0EE38170
	buffer_load_dwordx4 a[240:243], v41, s[92:95], 0 offen     // 000000008B30: E05C1000 8097F029
	v_mfma_f32_16x16x32_fp8_fp8 v[184:187], a[114:115], v[194:195], v[184:187]// 000000008B38: D3F300B8 0EE38572
	v_mfma_f32_16x16x32_fp8_fp8 v[184:187], a[116:117], v[196:197], v[184:187]// 000000008B40: D3F300B8 0EE38974
	v_mfma_f32_16x16x32_fp8_fp8 v[184:187], a[118:119], v[198:199], v[184:187]// 000000008B48: D3F300B8 0EE38D76
	v_mfma_f32_16x16x32_fp8_fp8 v[184:187], a[120:121], v[200:201], v[184:187]// 000000008B50: D3F300B8 0EE39178
	buffer_load_dwordx4 a[244:247], v41, s[92:95], 0 offen offset:1024// 000000008B58: E05C1400 8097F429
	v_mfma_f32_16x16x32_fp8_fp8 v[184:187], a[122:123], v[202:203], v[184:187]// 000000008B60: D3F300B8 0EE3957A
	v_mfma_f32_16x16x32_fp8_fp8 v[184:187], a[124:125], v[204:205], v[184:187]// 000000008B68: D3F300B8 0EE3997C
	v_mfma_f32_16x16x32_fp8_fp8 v[184:187], a[126:127], v[206:207], v[184:187]// 000000008B70: D3F300B8 0EE39D7E
	v_mfma_f32_16x16x32_fp8_fp8 v[188:191], a[112:113], v[208:209], v[188:191]// 000000008B78: D3F300BC 0EF3A170
	buffer_load_dwordx4 a[248:251], v41, s[92:95], 0 offen offset:2048// 000000008B80: E05C1800 8097F829
	v_mfma_f32_16x16x32_fp8_fp8 v[188:191], a[114:115], v[210:211], v[188:191]// 000000008B88: D3F300BC 0EF3A572
	v_mfma_f32_16x16x32_fp8_fp8 v[188:191], a[116:117], v[212:213], v[188:191]// 000000008B90: D3F300BC 0EF3A974
	v_mfma_f32_16x16x32_fp8_fp8 v[188:191], a[118:119], v[214:215], v[188:191]// 000000008B98: D3F300BC 0EF3AD76
	v_mfma_f32_16x16x32_fp8_fp8 v[188:191], a[120:121], v[216:217], v[188:191]// 000000008BA0: D3F300BC 0EF3B178
	buffer_load_dwordx4 a[252:255], v41, s[92:95], 0 offen offset:3072// 000000008BA8: E05C1C00 8097FC29
	v_mfma_f32_16x16x32_fp8_fp8 v[188:191], a[122:123], v[218:219], v[188:191]// 000000008BB0: D3F300BC 0EF3B57A
	v_mfma_f32_16x16x32_fp8_fp8 v[188:191], a[124:125], v[220:221], v[188:191]// 000000008BB8: D3F300BC 0EF3B97C
	v_mfma_f32_16x16x32_fp8_fp8 v[188:191], a[126:127], v[222:223], v[188:191]// 000000008BC0: D3F300BC 0EF3BD7E
	s_waitcnt vmcnt(24)                                        // 000000008BC8: BF8C4F78
	s_barrier                                                  // 000000008BCC: BF8A0000
	v_mfma_f32_16x16x32_fp8_fp8 v[64:67], a[128:129], v[192:193], v[64:67]// 000000008BD0: D3F30040 0D038180
	buffer_load_dwordx4 a[0:3], v34, s[24:27], 0 offen         // 000000008BD8: E05C1000 80860022
	v_mfma_f32_16x16x32_fp8_fp8 v[64:67], a[130:131], v[194:195], v[64:67]// 000000008BE0: D3F30040 0D038582
	v_mfma_f32_16x16x32_fp8_fp8 v[64:67], a[132:133], v[196:197], v[64:67]// 000000008BE8: D3F30040 0D038984
	v_mfma_f32_16x16x32_fp8_fp8 v[64:67], a[134:135], v[198:199], v[64:67]// 000000008BF0: D3F30040 0D038D86
	v_mfma_f32_16x16x32_fp8_fp8 v[64:67], a[136:137], v[200:201], v[64:67]// 000000008BF8: D3F30040 0D039188
	buffer_load_dwordx4 a[4:7], v34, s[24:27], 0 offen offset:1024// 000000008C00: E05C1400 80860422
	v_mfma_f32_16x16x32_fp8_fp8 v[64:67], a[138:139], v[202:203], v[64:67]// 000000008C08: D3F30040 0D03958A
	v_mfma_f32_16x16x32_fp8_fp8 v[64:67], a[140:141], v[204:205], v[64:67]// 000000008C10: D3F30040 0D03998C
	v_mfma_f32_16x16x32_fp8_fp8 v[64:67], a[142:143], v[206:207], v[64:67]// 000000008C18: D3F30040 0D039D8E
	v_mfma_f32_16x16x32_fp8_fp8 v[68:71], a[128:129], v[208:209], v[68:71]// 000000008C20: D3F30044 0D13A180
	buffer_load_dwordx4 a[8:11], v34, s[24:27], 0 offen offset:2048// 000000008C28: E05C1800 80860822
	v_mfma_f32_16x16x32_fp8_fp8 v[68:71], a[130:131], v[210:211], v[68:71]// 000000008C30: D3F30044 0D13A582
	v_mfma_f32_16x16x32_fp8_fp8 v[68:71], a[132:133], v[212:213], v[68:71]// 000000008C38: D3F30044 0D13A984
	v_mfma_f32_16x16x32_fp8_fp8 v[68:71], a[134:135], v[214:215], v[68:71]// 000000008C40: D3F30044 0D13AD86
	v_mfma_f32_16x16x32_fp8_fp8 v[68:71], a[136:137], v[216:217], v[68:71]// 000000008C48: D3F30044 0D13B188
	buffer_load_dwordx4 a[12:15], v34, s[24:27], 0 offen offset:3072// 000000008C50: E05C1C00 80860C22
	v_mfma_f32_16x16x32_fp8_fp8 v[68:71], a[138:139], v[218:219], v[68:71]// 000000008C58: D3F30044 0D13B58A
	v_mfma_f32_16x16x32_fp8_fp8 v[68:71], a[140:141], v[220:221], v[68:71]// 000000008C60: D3F30044 0D13B98C
	v_mfma_f32_16x16x32_fp8_fp8 v[68:71], a[142:143], v[222:223], v[68:71]// 000000008C68: D3F30044 0D13BD8E
	v_mfma_f32_16x16x32_fp8_fp8 v[72:75], a[144:145], v[192:193], v[72:75]// 000000008C70: D3F30048 0D238190
	buffer_load_dwordx4 a[16:19], v35, s[24:27], 0 offen       // 000000008C78: E05C1000 80861023
	v_mfma_f32_16x16x32_fp8_fp8 v[72:75], a[146:147], v[194:195], v[72:75]// 000000008C80: D3F30048 0D238592
	v_mfma_f32_16x16x32_fp8_fp8 v[72:75], a[148:149], v[196:197], v[72:75]// 000000008C88: D3F30048 0D238994
	v_mfma_f32_16x16x32_fp8_fp8 v[72:75], a[150:151], v[198:199], v[72:75]// 000000008C90: D3F30048 0D238D96
	v_mfma_f32_16x16x32_fp8_fp8 v[72:75], a[152:153], v[200:201], v[72:75]// 000000008C98: D3F30048 0D239198
	buffer_load_dwordx4 a[20:23], v35, s[24:27], 0 offen offset:1024// 000000008CA0: E05C1400 80861423
	v_mfma_f32_16x16x32_fp8_fp8 v[72:75], a[154:155], v[202:203], v[72:75]// 000000008CA8: D3F30048 0D23959A
	v_mfma_f32_16x16x32_fp8_fp8 v[72:75], a[156:157], v[204:205], v[72:75]// 000000008CB0: D3F30048 0D23999C
	v_mfma_f32_16x16x32_fp8_fp8 v[72:75], a[158:159], v[206:207], v[72:75]// 000000008CB8: D3F30048 0D239D9E
	v_mfma_f32_16x16x32_fp8_fp8 v[76:79], a[144:145], v[208:209], v[76:79]// 000000008CC0: D3F3004C 0D33A190
	buffer_load_dwordx4 a[24:27], v35, s[24:27], 0 offen offset:2048// 000000008CC8: E05C1800 80861823
	v_mfma_f32_16x16x32_fp8_fp8 v[76:79], a[146:147], v[210:211], v[76:79]// 000000008CD0: D3F3004C 0D33A592
	v_mfma_f32_16x16x32_fp8_fp8 v[76:79], a[148:149], v[212:213], v[76:79]// 000000008CD8: D3F3004C 0D33A994
	v_mfma_f32_16x16x32_fp8_fp8 v[76:79], a[150:151], v[214:215], v[76:79]// 000000008CE0: D3F3004C 0D33AD96
	v_mfma_f32_16x16x32_fp8_fp8 v[76:79], a[152:153], v[216:217], v[76:79]// 000000008CE8: D3F3004C 0D33B198
	buffer_load_dwordx4 a[28:31], v35, s[24:27], 0 offen offset:3072// 000000008CF0: E05C1C00 80861C23
	v_mfma_f32_16x16x32_fp8_fp8 v[76:79], a[154:155], v[218:219], v[76:79]// 000000008CF8: D3F3004C 0D33B59A
	v_mfma_f32_16x16x32_fp8_fp8 v[76:79], a[156:157], v[220:221], v[76:79]// 000000008D00: D3F3004C 0D33B99C
	v_mfma_f32_16x16x32_fp8_fp8 v[76:79], a[158:159], v[222:223], v[76:79]// 000000008D08: D3F3004C 0D33BD9E
	s_waitcnt vmcnt(28)                                        // 000000008D10: BF8C4F7C
	v_mfma_f32_16x16x32_fp8_fp8 v[80:83], a[160:161], v[192:193], v[80:83]// 000000008D14: D3F30050 0D4381A0
	buffer_load_dwordx4 a[32:35], v36, s[24:27], 0 offen       // 000000008D1C: E05C1000 80862024
	v_mfma_f32_16x16x32_fp8_fp8 v[80:83], a[162:163], v[194:195], v[80:83]// 000000008D24: D3F30050 0D4385A2
	v_mfma_f32_16x16x32_fp8_fp8 v[80:83], a[164:165], v[196:197], v[80:83]// 000000008D2C: D3F30050 0D4389A4
	ds_read_b128 v[224:227], v2 offset:8320                    // 000000008D34: D9FE2080 E0000002
	v_mfma_f32_16x16x32_fp8_fp8 v[80:83], a[166:167], v[198:199], v[80:83]// 000000008D3C: D3F30050 0D438DA6
	v_mfma_f32_16x16x32_fp8_fp8 v[80:83], a[168:169], v[200:201], v[80:83]// 000000008D44: D3F30050 0D4391A8
	buffer_load_dwordx4 a[36:39], v36, s[24:27], 0 offen offset:1024// 000000008D4C: E05C1400 80862424
	v_mfma_f32_16x16x32_fp8_fp8 v[80:83], a[170:171], v[202:203], v[80:83]// 000000008D54: D3F30050 0D4395AA
	v_mfma_f32_16x16x32_fp8_fp8 v[80:83], a[172:173], v[204:205], v[80:83]// 000000008D5C: D3F30050 0D4399AC
	ds_read_b128 v[228:231], v2 offset:8384                    // 000000008D64: D9FE20C0 E4000002
	v_mfma_f32_16x16x32_fp8_fp8 v[80:83], a[174:175], v[206:207], v[80:83]// 000000008D6C: D3F30050 0D439DAE
	v_mfma_f32_16x16x32_fp8_fp8 v[84:87], a[160:161], v[208:209], v[84:87]// 000000008D74: D3F30054 0D53A1A0
	buffer_load_dwordx4 a[40:43], v36, s[24:27], 0 offen offset:2048// 000000008D7C: E05C1800 80862824
	v_mfma_f32_16x16x32_fp8_fp8 v[84:87], a[162:163], v[210:211], v[84:87]// 000000008D84: D3F30054 0D53A5A2
	v_mfma_f32_16x16x32_fp8_fp8 v[84:87], a[164:165], v[212:213], v[84:87]// 000000008D8C: D3F30054 0D53A9A4
	ds_read_b128 v[232:235], v2 offset:8448                    // 000000008D94: D9FE2100 E8000002
	v_mfma_f32_16x16x32_fp8_fp8 v[84:87], a[166:167], v[214:215], v[84:87]// 000000008D9C: D3F30054 0D53ADA6
	v_mfma_f32_16x16x32_fp8_fp8 v[84:87], a[168:169], v[216:217], v[84:87]// 000000008DA4: D3F30054 0D53B1A8
	buffer_load_dwordx4 a[44:47], v36, s[24:27], 0 offen offset:3072// 000000008DAC: E05C1C00 80862C24
	v_mfma_f32_16x16x32_fp8_fp8 v[84:87], a[170:171], v[218:219], v[84:87]// 000000008DB4: D3F30054 0D53B5AA
	v_mfma_f32_16x16x32_fp8_fp8 v[84:87], a[172:173], v[220:221], v[84:87]// 000000008DBC: D3F30054 0D53B9AC
	ds_read_b128 v[236:239], v2 offset:8512                    // 000000008DC4: D9FE2140 EC000002
	v_mfma_f32_16x16x32_fp8_fp8 v[84:87], a[174:175], v[222:223], v[84:87]// 000000008DCC: D3F30054 0D53BDAE
	s_waitcnt vmcnt(28)                                        // 000000008DD4: BF8C4F7C
	v_mfma_f32_16x16x32_fp8_fp8 v[88:91], a[176:177], v[192:193], v[88:91]// 000000008DD8: D3F30058 0D6381B0
	buffer_load_dwordx4 a[48:51], v37, s[24:27], 0 offen       // 000000008DE0: E05C1000 80863025
	v_mfma_f32_16x16x32_fp8_fp8 v[88:91], a[178:179], v[194:195], v[88:91]// 000000008DE8: D3F30058 0D6385B2
	v_mfma_f32_16x16x32_fp8_fp8 v[88:91], a[180:181], v[196:197], v[88:91]// 000000008DF0: D3F30058 0D6389B4
	ds_read_b128 v[240:243], v2 offset:9344                    // 000000008DF8: D9FE2480 F0000002
	v_mfma_f32_16x16x32_fp8_fp8 v[88:91], a[182:183], v[198:199], v[88:91]// 000000008E00: D3F30058 0D638DB6
	v_mfma_f32_16x16x32_fp8_fp8 v[88:91], a[184:185], v[200:201], v[88:91]// 000000008E08: D3F30058 0D6391B8
	buffer_load_dwordx4 a[52:55], v37, s[24:27], 0 offen offset:1024// 000000008E10: E05C1400 80863425
	v_mfma_f32_16x16x32_fp8_fp8 v[88:91], a[186:187], v[202:203], v[88:91]// 000000008E18: D3F30058 0D6395BA
	v_mfma_f32_16x16x32_fp8_fp8 v[88:91], a[188:189], v[204:205], v[88:91]// 000000008E20: D3F30058 0D6399BC
	ds_read_b128 v[244:247], v2 offset:9408                    // 000000008E28: D9FE24C0 F4000002
	v_mfma_f32_16x16x32_fp8_fp8 v[88:91], a[190:191], v[206:207], v[88:91]// 000000008E30: D3F30058 0D639DBE
	v_mfma_f32_16x16x32_fp8_fp8 v[92:95], a[176:177], v[208:209], v[92:95]// 000000008E38: D3F3005C 0D73A1B0
	buffer_load_dwordx4 a[56:59], v37, s[24:27], 0 offen offset:2048// 000000008E40: E05C1800 80863825
	v_mfma_f32_16x16x32_fp8_fp8 v[92:95], a[178:179], v[210:211], v[92:95]// 000000008E48: D3F3005C 0D73A5B2
	v_mfma_f32_16x16x32_fp8_fp8 v[92:95], a[180:181], v[212:213], v[92:95]// 000000008E50: D3F3005C 0D73A9B4
	ds_read_b128 v[248:251], v2 offset:9472                    // 000000008E58: D9FE2500 F8000002
	v_mfma_f32_16x16x32_fp8_fp8 v[92:95], a[182:183], v[214:215], v[92:95]// 000000008E60: D3F3005C 0D73ADB6
	v_mfma_f32_16x16x32_fp8_fp8 v[92:95], a[184:185], v[216:217], v[92:95]// 000000008E68: D3F3005C 0D73B1B8
	buffer_load_dwordx4 a[60:63], v37, s[24:27], 0 offen offset:3072// 000000008E70: E05C1C00 80863C25
	v_mfma_f32_16x16x32_fp8_fp8 v[92:95], a[186:187], v[218:219], v[92:95]// 000000008E78: D3F3005C 0D73B5BA
	v_mfma_f32_16x16x32_fp8_fp8 v[92:95], a[188:189], v[220:221], v[92:95]// 000000008E80: D3F3005C 0D73B9BC
	ds_read_b128 v[252:255], v2 offset:9536                    // 000000008E88: D9FE2540 FC000002
	v_mfma_f32_16x16x32_fp8_fp8 v[92:95], a[190:191], v[222:223], v[92:95]// 000000008E90: D3F3005C 0D73BDBE
	s_waitcnt vmcnt(28)                                        // 000000008E98: BF8C4F7C
	v_mfma_f32_16x16x32_fp8_fp8 v[96:99], a[192:193], v[192:193], v[96:99]// 000000008E9C: D3F30060 0D8381C0
	buffer_load_dwordx4 a[64:67], v38, s[24:27], 0 offen       // 000000008EA4: E05C1000 80864026
	v_mfma_f32_16x16x32_fp8_fp8 v[96:99], a[194:195], v[194:195], v[96:99]// 000000008EAC: D3F30060 0D8385C2
	v_mfma_f32_16x16x32_fp8_fp8 v[96:99], a[196:197], v[196:197], v[96:99]// 000000008EB4: D3F30060 0D8389C4
	v_mfma_f32_16x16x32_fp8_fp8 v[96:99], a[198:199], v[198:199], v[96:99]// 000000008EBC: D3F30060 0D838DC6
	v_mfma_f32_16x16x32_fp8_fp8 v[96:99], a[200:201], v[200:201], v[96:99]// 000000008EC4: D3F30060 0D8391C8
	buffer_load_dwordx4 a[68:71], v38, s[24:27], 0 offen offset:1024// 000000008ECC: E05C1400 80864426
	v_mfma_f32_16x16x32_fp8_fp8 v[96:99], a[202:203], v[202:203], v[96:99]// 000000008ED4: D3F30060 0D8395CA
	v_mfma_f32_16x16x32_fp8_fp8 v[96:99], a[204:205], v[204:205], v[96:99]// 000000008EDC: D3F30060 0D8399CC
	v_mfma_f32_16x16x32_fp8_fp8 v[96:99], a[206:207], v[206:207], v[96:99]// 000000008EE4: D3F30060 0D839DCE
	v_mfma_f32_16x16x32_fp8_fp8 v[100:103], a[192:193], v[208:209], v[100:103]// 000000008EEC: D3F30064 0D93A1C0
	buffer_load_dwordx4 a[72:75], v38, s[24:27], 0 offen offset:2048// 000000008EF4: E05C1800 80864826
	v_mfma_f32_16x16x32_fp8_fp8 v[100:103], a[194:195], v[210:211], v[100:103]// 000000008EFC: D3F30064 0D93A5C2
	v_mfma_f32_16x16x32_fp8_fp8 v[100:103], a[196:197], v[212:213], v[100:103]// 000000008F04: D3F30064 0D93A9C4
	v_mfma_f32_16x16x32_fp8_fp8 v[100:103], a[198:199], v[214:215], v[100:103]// 000000008F0C: D3F30064 0D93ADC6
	v_mfma_f32_16x16x32_fp8_fp8 v[100:103], a[200:201], v[216:217], v[100:103]// 000000008F14: D3F30064 0D93B1C8
	buffer_load_dwordx4 a[76:79], v38, s[24:27], 0 offen offset:3072// 000000008F1C: E05C1C00 80864C26
	v_mfma_f32_16x16x32_fp8_fp8 v[100:103], a[202:203], v[218:219], v[100:103]// 000000008F24: D3F30064 0D93B5CA
	v_mfma_f32_16x16x32_fp8_fp8 v[100:103], a[204:205], v[220:221], v[100:103]// 000000008F2C: D3F30064 0D93B9CC
	v_mfma_f32_16x16x32_fp8_fp8 v[100:103], a[206:207], v[222:223], v[100:103]// 000000008F34: D3F30064 0D93BDCE
	s_waitcnt vmcnt(28)                                        // 000000008F3C: BF8C4F7C
	v_mfma_f32_16x16x32_fp8_fp8 v[104:107], a[208:209], v[192:193], v[104:107]// 000000008F40: D3F30068 0DA381D0
	buffer_load_dwordx4 a[80:83], v39, s[24:27], 0 offen       // 000000008F48: E05C1000 80865027
	v_mfma_f32_16x16x32_fp8_fp8 v[104:107], a[210:211], v[194:195], v[104:107]// 000000008F50: D3F30068 0DA385D2
	v_mfma_f32_16x16x32_fp8_fp8 v[104:107], a[212:213], v[196:197], v[104:107]// 000000008F58: D3F30068 0DA389D4
	v_mfma_f32_16x16x32_fp8_fp8 v[104:107], a[214:215], v[198:199], v[104:107]// 000000008F60: D3F30068 0DA38DD6
	v_mfma_f32_16x16x32_fp8_fp8 v[104:107], a[216:217], v[200:201], v[104:107]// 000000008F68: D3F30068 0DA391D8
	buffer_load_dwordx4 a[84:87], v39, s[24:27], 0 offen offset:1024// 000000008F70: E05C1400 80865427
	v_mfma_f32_16x16x32_fp8_fp8 v[104:107], a[218:219], v[202:203], v[104:107]// 000000008F78: D3F30068 0DA395DA
	v_mfma_f32_16x16x32_fp8_fp8 v[104:107], a[220:221], v[204:205], v[104:107]// 000000008F80: D3F30068 0DA399DC
	v_mfma_f32_16x16x32_fp8_fp8 v[104:107], a[222:223], v[206:207], v[104:107]// 000000008F88: D3F30068 0DA39DDE
	v_mfma_f32_16x16x32_fp8_fp8 v[108:111], a[208:209], v[208:209], v[108:111]// 000000008F90: D3F3006C 0DB3A1D0
	buffer_load_dwordx4 a[88:91], v39, s[24:27], 0 offen offset:2048// 000000008F98: E05C1800 80865827
	v_mfma_f32_16x16x32_fp8_fp8 v[108:111], a[210:211], v[210:211], v[108:111]// 000000008FA0: D3F3006C 0DB3A5D2
	v_mfma_f32_16x16x32_fp8_fp8 v[108:111], a[212:213], v[212:213], v[108:111]// 000000008FA8: D3F3006C 0DB3A9D4
	v_mfma_f32_16x16x32_fp8_fp8 v[108:111], a[214:215], v[214:215], v[108:111]// 000000008FB0: D3F3006C 0DB3ADD6
	v_mfma_f32_16x16x32_fp8_fp8 v[108:111], a[216:217], v[216:217], v[108:111]// 000000008FB8: D3F3006C 0DB3B1D8
	buffer_load_dwordx4 a[92:95], v39, s[24:27], 0 offen offset:3072// 000000008FC0: E05C1C00 80865C27
	v_mfma_f32_16x16x32_fp8_fp8 v[108:111], a[218:219], v[218:219], v[108:111]// 000000008FC8: D3F3006C 0DB3B5DA
	v_mfma_f32_16x16x32_fp8_fp8 v[108:111], a[220:221], v[220:221], v[108:111]// 000000008FD0: D3F3006C 0DB3B9DC
	v_mfma_f32_16x16x32_fp8_fp8 v[108:111], a[222:223], v[222:223], v[108:111]// 000000008FD8: D3F3006C 0DB3BDDE
	s_waitcnt vmcnt(28)                                        // 000000008FE0: BF8C4F7C
	v_mfma_f32_16x16x32_fp8_fp8 v[112:115], a[224:225], v[192:193], v[112:115]// 000000008FE4: D3F30070 0DC381E0
	buffer_load_dwordx4 a[96:99], v40, s[24:27], 0 offen       // 000000008FEC: E05C1000 80866028
	v_mfma_f32_16x16x32_fp8_fp8 v[112:115], a[226:227], v[194:195], v[112:115]// 000000008FF4: D3F30070 0DC385E2
	v_mfma_f32_16x16x32_fp8_fp8 v[112:115], a[228:229], v[196:197], v[112:115]// 000000008FFC: D3F30070 0DC389E4
	v_mfma_f32_16x16x32_fp8_fp8 v[112:115], a[230:231], v[198:199], v[112:115]// 000000009004: D3F30070 0DC38DE6
	v_mfma_f32_16x16x32_fp8_fp8 v[112:115], a[232:233], v[200:201], v[112:115]// 00000000900C: D3F30070 0DC391E8
	buffer_load_dwordx4 a[100:103], v40, s[24:27], 0 offen offset:1024// 000000009014: E05C1400 80866428
	v_mfma_f32_16x16x32_fp8_fp8 v[112:115], a[234:235], v[202:203], v[112:115]// 00000000901C: D3F30070 0DC395EA
	v_mfma_f32_16x16x32_fp8_fp8 v[112:115], a[236:237], v[204:205], v[112:115]// 000000009024: D3F30070 0DC399EC
	v_mfma_f32_16x16x32_fp8_fp8 v[112:115], a[238:239], v[206:207], v[112:115]// 00000000902C: D3F30070 0DC39DEE
	v_mfma_f32_16x16x32_fp8_fp8 v[116:119], a[224:225], v[208:209], v[116:119]// 000000009034: D3F30074 0DD3A1E0
	buffer_load_dwordx4 a[104:107], v40, s[24:27], 0 offen offset:2048// 00000000903C: E05C1800 80866828
	v_mfma_f32_16x16x32_fp8_fp8 v[116:119], a[226:227], v[210:211], v[116:119]// 000000009044: D3F30074 0DD3A5E2
	v_mfma_f32_16x16x32_fp8_fp8 v[116:119], a[228:229], v[212:213], v[116:119]// 00000000904C: D3F30074 0DD3A9E4
	v_mfma_f32_16x16x32_fp8_fp8 v[116:119], a[230:231], v[214:215], v[116:119]// 000000009054: D3F30074 0DD3ADE6
	v_mfma_f32_16x16x32_fp8_fp8 v[116:119], a[232:233], v[216:217], v[116:119]// 00000000905C: D3F30074 0DD3B1E8
	buffer_load_dwordx4 a[108:111], v40, s[24:27], 0 offen offset:3072// 000000009064: E05C1C00 80866C28
	v_mfma_f32_16x16x32_fp8_fp8 v[116:119], a[234:235], v[218:219], v[116:119]// 00000000906C: D3F30074 0DD3B5EA
	v_mfma_f32_16x16x32_fp8_fp8 v[116:119], a[236:237], v[220:221], v[116:119]// 000000009074: D3F30074 0DD3B9EC
	v_mfma_f32_16x16x32_fp8_fp8 v[116:119], a[238:239], v[222:223], v[116:119]// 00000000907C: D3F30074 0DD3BDEE
	s_waitcnt vmcnt(28)                                        // 000000009084: BF8C4F7C
	v_mfma_f32_16x16x32_fp8_fp8 v[120:123], a[240:241], v[192:193], v[120:123]// 000000009088: D3F30078 0DE381F0
	buffer_load_dwordx4 a[112:115], v41, s[24:27], 0 offen     // 000000009090: E05C1000 80867029
	v_mfma_f32_16x16x32_fp8_fp8 v[120:123], a[242:243], v[194:195], v[120:123]// 000000009098: D3F30078 0DE385F2
	v_mfma_f32_16x16x32_fp8_fp8 v[120:123], a[244:245], v[196:197], v[120:123]// 0000000090A0: D3F30078 0DE389F4
	v_mfma_f32_16x16x32_fp8_fp8 v[120:123], a[246:247], v[198:199], v[120:123]// 0000000090A8: D3F30078 0DE38DF6
	v_mfma_f32_16x16x32_fp8_fp8 v[120:123], a[248:249], v[200:201], v[120:123]// 0000000090B0: D3F30078 0DE391F8
	buffer_load_dwordx4 a[116:119], v41, s[24:27], 0 offen offset:1024// 0000000090B8: E05C1400 80867429
	v_mfma_f32_16x16x32_fp8_fp8 v[120:123], a[250:251], v[202:203], v[120:123]// 0000000090C0: D3F30078 0DE395FA
	v_mfma_f32_16x16x32_fp8_fp8 v[120:123], a[252:253], v[204:205], v[120:123]// 0000000090C8: D3F30078 0DE399FC
	v_mfma_f32_16x16x32_fp8_fp8 v[120:123], a[254:255], v[206:207], v[120:123]// 0000000090D0: D3F30078 0DE39DFE
	v_mfma_f32_16x16x32_fp8_fp8 v[124:127], a[240:241], v[208:209], v[124:127]// 0000000090D8: D3F3007C 0DF3A1F0
	buffer_load_dwordx4 a[120:123], v41, s[24:27], 0 offen offset:2048// 0000000090E0: E05C1800 80867829
	v_mfma_f32_16x16x32_fp8_fp8 v[124:127], a[242:243], v[210:211], v[124:127]// 0000000090E8: D3F3007C 0DF3A5F2
	v_mfma_f32_16x16x32_fp8_fp8 v[124:127], a[244:245], v[212:213], v[124:127]// 0000000090F0: D3F3007C 0DF3A9F4
	v_mfma_f32_16x16x32_fp8_fp8 v[124:127], a[246:247], v[214:215], v[124:127]// 0000000090F8: D3F3007C 0DF3ADF6
	v_mfma_f32_16x16x32_fp8_fp8 v[124:127], a[248:249], v[216:217], v[124:127]// 000000009100: D3F3007C 0DF3B1F8
	buffer_load_dwordx4 a[124:127], v41, s[24:27], 0 offen offset:3072// 000000009108: E05C1C00 80867C29
	v_mfma_f32_16x16x32_fp8_fp8 v[124:127], a[250:251], v[218:219], v[124:127]// 000000009110: D3F3007C 0DF3B5FA
	v_mfma_f32_16x16x32_fp8_fp8 v[124:127], a[252:253], v[220:221], v[124:127]// 000000009118: D3F3007C 0DF3B9FC
	v_mfma_f32_16x16x32_fp8_fp8 v[124:127], a[254:255], v[222:223], v[124:127]// 000000009120: D3F3007C 0DF3BDFE
	s_add_u32 s60, 0x200, s80                                  // 000000009128: 803C50FF 00000200
	s_cmp_lt_u32 s60, s81                                      // 000000009130: BF0A513C
	s_cselect_b32 s57, s57, 0                                  // 000000009134: 85398039
	s_add_u32 s60, 0x200, s80                                  // 000000009138: 803C50FF 00000200
	s_cmp_lt_u32 s60, s81                                      // 000000009140: BF0A513C
	s_cselect_b32 s58, s58, 0                                  // 000000009144: 853A803A
	s_add_u32 s20, s57, s20                                    // 000000009148: 80141439
	s_addc_u32 s21, 0, s21                                     // 00000000914C: 82151580
	s_add_u32 s24, s58, s24                                    // 000000009150: 8018183A
	s_addc_u32 s25, 0, s25                                     // 000000009154: 82191980
	s_add_u32 s92, s90, s92                                    // 000000009158: 805C5C5A
	s_addc_u32 s93, 0, s93                                     // 00000000915C: 825D5D80
	s_addk_i32 s80, 0x100                                      // 000000009160: B7500100
	s_cmp_lt_i32 s80, s81                                      // 000000009164: BF045150
	s_cbranch_scc0 label_1BAC                                  // 000000009168: BF8402D1
	s_waitcnt vmcnt(24) lgkmcnt(0)                             // 00000000916C: BF8C4078
	s_barrier                                                  // 000000009170: BF8A0000
	v_mfma_f32_16x16x32_fp8_fp8 v[128:131], a[0:1], v[224:225], v[128:131]// 000000009174: D3F30080 0E03C100
	buffer_load_dwordx4 a[128:131], v34, s[92:95], 0 offen     // 00000000917C: E05C1000 80978022
	v_mfma_f32_16x16x32_fp8_fp8 v[128:131], a[2:3], v[226:227], v[128:131]// 000000009184: D3F30080 0E03C502
	v_mfma_f32_16x16x32_fp8_fp8 v[128:131], a[4:5], v[228:229], v[128:131]// 00000000918C: D3F30080 0E03C904
	buffer_load_dword v26, s[20:23], 0 offen lds               // 000000009194: E0511000 8005001A
	s_add_u32 m0, 0x100, s50                                   // 00000000919C: 807C32FF 00000100
	v_mfma_f32_16x16x32_fp8_fp8 v[128:131], a[6:7], v[230:231], v[128:131]// 0000000091A4: D3F30080 0E03CD06
	v_mfma_f32_16x16x32_fp8_fp8 v[128:131], a[8:9], v[232:233], v[128:131]// 0000000091AC: D3F30080 0E03D108
	buffer_load_dwordx4 a[132:135], v34, s[92:95], 0 offen offset:1024// 0000000091B4: E05C1400 80978422
	v_mfma_f32_16x16x32_fp8_fp8 v[128:131], a[10:11], v[234:235], v[128:131]// 0000000091BC: D3F30080 0E03D50A
	v_mfma_f32_16x16x32_fp8_fp8 v[128:131], a[12:13], v[236:237], v[128:131]// 0000000091C4: D3F30080 0E03D90C
	buffer_load_dword v27, s[20:23], 0 offen lds               // 0000000091CC: E0511000 8005001B
	s_add_u32 m0, 0x200, s50                                   // 0000000091D4: 807C32FF 00000200
	v_mfma_f32_16x16x32_fp8_fp8 v[128:131], a[14:15], v[238:239], v[128:131]// 0000000091DC: D3F30080 0E03DD0E
	v_mfma_f32_16x16x32_fp8_fp8 v[132:135], a[0:1], v[240:241], v[132:135]// 0000000091E4: D3F30084 0E13E100
	buffer_load_dwordx4 a[136:139], v34, s[92:95], 0 offen offset:2048// 0000000091EC: E05C1800 80978822
	v_mfma_f32_16x16x32_fp8_fp8 v[132:135], a[2:3], v[242:243], v[132:135]// 0000000091F4: D3F30084 0E13E502
	v_mfma_f32_16x16x32_fp8_fp8 v[132:135], a[4:5], v[244:245], v[132:135]// 0000000091FC: D3F30084 0E13E904
	buffer_load_dword v28, s[20:23], 0 offen lds               // 000000009204: E0511000 8005001C
	s_add_u32 m0, 0x300, s50                                   // 00000000920C: 807C32FF 00000300
	v_mfma_f32_16x16x32_fp8_fp8 v[132:135], a[6:7], v[246:247], v[132:135]// 000000009214: D3F30084 0E13ED06
	v_mfma_f32_16x16x32_fp8_fp8 v[132:135], a[8:9], v[248:249], v[132:135]// 00000000921C: D3F30084 0E13F108
	buffer_load_dwordx4 a[140:143], v34, s[92:95], 0 offen offset:3072// 000000009224: E05C1C00 80978C22
	v_mfma_f32_16x16x32_fp8_fp8 v[132:135], a[10:11], v[250:251], v[132:135]// 00000000922C: D3F30084 0E13F50A
	v_mfma_f32_16x16x32_fp8_fp8 v[132:135], a[12:13], v[252:253], v[132:135]// 000000009234: D3F30084 0E13F90C
	buffer_load_dword v29, s[20:23], 0 offen lds               // 00000000923C: E0511000 8005001D
	s_add_u32 m0, 0x400, s50                                   // 000000009244: 807C32FF 00000400
	v_mfma_f32_16x16x32_fp8_fp8 v[132:135], a[14:15], v[254:255], v[132:135]// 00000000924C: D3F30084 0E13FD0E
	v_mfma_f32_16x16x32_fp8_fp8 v[136:139], a[16:17], v[224:225], v[136:139]// 000000009254: D3F30088 0E23C110
	buffer_load_dwordx4 a[144:147], v35, s[92:95], 0 offen     // 00000000925C: E05C1000 80979023
	v_mfma_f32_16x16x32_fp8_fp8 v[136:139], a[18:19], v[226:227], v[136:139]// 000000009264: D3F30088 0E23C512
	v_mfma_f32_16x16x32_fp8_fp8 v[136:139], a[20:21], v[228:229], v[136:139]// 00000000926C: D3F30088 0E23C914
	buffer_load_dword v30, s[20:23], 0 offen lds               // 000000009274: E0511000 8005001E
	s_add_u32 m0, 0x500, s50                                   // 00000000927C: 807C32FF 00000500
	v_mfma_f32_16x16x32_fp8_fp8 v[136:139], a[22:23], v[230:231], v[136:139]// 000000009284: D3F30088 0E23CD16
	v_mfma_f32_16x16x32_fp8_fp8 v[136:139], a[24:25], v[232:233], v[136:139]// 00000000928C: D3F30088 0E23D118
	buffer_load_dwordx4 a[148:151], v35, s[92:95], 0 offen offset:1024// 000000009294: E05C1400 80979423
	v_mfma_f32_16x16x32_fp8_fp8 v[136:139], a[26:27], v[234:235], v[136:139]// 00000000929C: D3F30088 0E23D51A
	v_mfma_f32_16x16x32_fp8_fp8 v[136:139], a[28:29], v[236:237], v[136:139]// 0000000092A4: D3F30088 0E23D91C
	buffer_load_dword v31, s[20:23], 0 offen lds               // 0000000092AC: E0511000 8005001F
	s_add_u32 m0, 0x600, s50                                   // 0000000092B4: 807C32FF 00000600
	v_mfma_f32_16x16x32_fp8_fp8 v[136:139], a[30:31], v[238:239], v[136:139]// 0000000092BC: D3F30088 0E23DD1E
	v_mfma_f32_16x16x32_fp8_fp8 v[140:143], a[16:17], v[240:241], v[140:143]// 0000000092C4: D3F3008C 0E33E110
	buffer_load_dwordx4 a[152:155], v35, s[92:95], 0 offen offset:2048// 0000000092CC: E05C1800 80979823
	v_mfma_f32_16x16x32_fp8_fp8 v[140:143], a[18:19], v[242:243], v[140:143]// 0000000092D4: D3F3008C 0E33E512
	v_mfma_f32_16x16x32_fp8_fp8 v[140:143], a[20:21], v[244:245], v[140:143]// 0000000092DC: D3F3008C 0E33E914
	buffer_load_dword v32, s[20:23], 0 offen lds               // 0000000092E4: E0511000 80050020
	s_add_u32 m0, 0x700, s50                                   // 0000000092EC: 807C32FF 00000700
	v_mfma_f32_16x16x32_fp8_fp8 v[140:143], a[22:23], v[246:247], v[140:143]// 0000000092F4: D3F3008C 0E33ED16
	v_mfma_f32_16x16x32_fp8_fp8 v[140:143], a[24:25], v[248:249], v[140:143]// 0000000092FC: D3F3008C 0E33F118
	buffer_load_dwordx4 a[156:159], v35, s[92:95], 0 offen offset:3072// 000000009304: E05C1C00 80979C23
	v_mfma_f32_16x16x32_fp8_fp8 v[140:143], a[26:27], v[250:251], v[140:143]// 00000000930C: D3F3008C 0E33F51A
	v_mfma_f32_16x16x32_fp8_fp8 v[140:143], a[28:29], v[252:253], v[140:143]// 000000009314: D3F3008C 0E33F91C
	buffer_load_dword v33, s[20:23], 0 offen lds               // 00000000931C: E0511000 80050021
	s_add_u32 m0, 0, s51                                       // 000000009324: 807C3380
	v_mfma_f32_16x16x32_fp8_fp8 v[140:143], a[30:31], v[254:255], v[140:143]// 000000009328: D3F3008C 0E33FD1E
	s_waitcnt vmcnt(36)                                        // 000000009330: BF8C8F74
	v_mfma_f32_16x16x32_fp8_fp8 v[144:147], a[32:33], v[224:225], v[144:147]// 000000009334: D3F30090 0E43C120
	buffer_load_dwordx4 a[160:163], v36, s[92:95], 0 offen     // 00000000933C: E05C1000 8097A024
	v_mfma_f32_16x16x32_fp8_fp8 v[144:147], a[34:35], v[226:227], v[144:147]// 000000009344: D3F30090 0E43C522
	v_mfma_f32_16x16x32_fp8_fp8 v[144:147], a[36:37], v[228:229], v[144:147]// 00000000934C: D3F30090 0E43C924
	v_mfma_f32_16x16x32_fp8_fp8 v[144:147], a[38:39], v[230:231], v[144:147]// 000000009354: D3F30090 0E43CD26
	v_mfma_f32_16x16x32_fp8_fp8 v[144:147], a[40:41], v[232:233], v[144:147]// 00000000935C: D3F30090 0E43D128
	buffer_load_dwordx4 a[164:167], v36, s[92:95], 0 offen offset:1024// 000000009364: E05C1400 8097A424
	v_mfma_f32_16x16x32_fp8_fp8 v[144:147], a[42:43], v[234:235], v[144:147]// 00000000936C: D3F30090 0E43D52A
	v_mfma_f32_16x16x32_fp8_fp8 v[144:147], a[44:45], v[236:237], v[144:147]// 000000009374: D3F30090 0E43D92C
	v_mfma_f32_16x16x32_fp8_fp8 v[144:147], a[46:47], v[238:239], v[144:147]// 00000000937C: D3F30090 0E43DD2E
	v_mfma_f32_16x16x32_fp8_fp8 v[148:151], a[32:33], v[240:241], v[148:151]// 000000009384: D3F30094 0E53E120
	buffer_load_dwordx4 a[168:171], v36, s[92:95], 0 offen offset:2048// 00000000938C: E05C1800 8097A824
	v_mfma_f32_16x16x32_fp8_fp8 v[148:151], a[34:35], v[242:243], v[148:151]// 000000009394: D3F30094 0E53E522
	v_mfma_f32_16x16x32_fp8_fp8 v[148:151], a[36:37], v[244:245], v[148:151]// 00000000939C: D3F30094 0E53E924
	v_mfma_f32_16x16x32_fp8_fp8 v[148:151], a[38:39], v[246:247], v[148:151]// 0000000093A4: D3F30094 0E53ED26
	v_mfma_f32_16x16x32_fp8_fp8 v[148:151], a[40:41], v[248:249], v[148:151]// 0000000093AC: D3F30094 0E53F128
	buffer_load_dwordx4 a[172:175], v36, s[92:95], 0 offen offset:3072// 0000000093B4: E05C1C00 8097AC24
	v_mfma_f32_16x16x32_fp8_fp8 v[148:151], a[42:43], v[250:251], v[148:151]// 0000000093BC: D3F30094 0E53F52A
	v_mfma_f32_16x16x32_fp8_fp8 v[148:151], a[44:45], v[252:253], v[148:151]// 0000000093C4: D3F30094 0E53F92C
	v_mfma_f32_16x16x32_fp8_fp8 v[148:151], a[46:47], v[254:255], v[148:151]// 0000000093CC: D3F30094 0E53FD2E
	s_waitcnt vmcnt(36)                                        // 0000000093D4: BF8C8F74
	v_mfma_f32_16x16x32_fp8_fp8 v[152:155], a[48:49], v[224:225], v[152:155]// 0000000093D8: D3F30098 0E63C130
	buffer_load_dwordx4 a[176:179], v37, s[92:95], 0 offen     // 0000000093E0: E05C1000 8097B025
	v_mfma_f32_16x16x32_fp8_fp8 v[152:155], a[50:51], v[226:227], v[152:155]// 0000000093E8: D3F30098 0E63C532
	v_mfma_f32_16x16x32_fp8_fp8 v[152:155], a[52:53], v[228:229], v[152:155]// 0000000093F0: D3F30098 0E63C934
	v_mfma_f32_16x16x32_fp8_fp8 v[152:155], a[54:55], v[230:231], v[152:155]// 0000000093F8: D3F30098 0E63CD36
	v_mfma_f32_16x16x32_fp8_fp8 v[152:155], a[56:57], v[232:233], v[152:155]// 000000009400: D3F30098 0E63D138
	buffer_load_dwordx4 a[180:183], v37, s[92:95], 0 offen offset:1024// 000000009408: E05C1400 8097B425
	v_mfma_f32_16x16x32_fp8_fp8 v[152:155], a[58:59], v[234:235], v[152:155]// 000000009410: D3F30098 0E63D53A
	v_mfma_f32_16x16x32_fp8_fp8 v[152:155], a[60:61], v[236:237], v[152:155]// 000000009418: D3F30098 0E63D93C
	v_mfma_f32_16x16x32_fp8_fp8 v[152:155], a[62:63], v[238:239], v[152:155]// 000000009420: D3F30098 0E63DD3E
	v_mfma_f32_16x16x32_fp8_fp8 v[156:159], a[48:49], v[240:241], v[156:159]// 000000009428: D3F3009C 0E73E130
	buffer_load_dwordx4 a[184:187], v37, s[92:95], 0 offen offset:2048// 000000009430: E05C1800 8097B825
	v_mfma_f32_16x16x32_fp8_fp8 v[156:159], a[50:51], v[242:243], v[156:159]// 000000009438: D3F3009C 0E73E532
	v_mfma_f32_16x16x32_fp8_fp8 v[156:159], a[52:53], v[244:245], v[156:159]// 000000009440: D3F3009C 0E73E934
	v_mfma_f32_16x16x32_fp8_fp8 v[156:159], a[54:55], v[246:247], v[156:159]// 000000009448: D3F3009C 0E73ED36
	v_mfma_f32_16x16x32_fp8_fp8 v[156:159], a[56:57], v[248:249], v[156:159]// 000000009450: D3F3009C 0E73F138
	buffer_load_dwordx4 a[188:191], v37, s[92:95], 0 offen offset:3072// 000000009458: E05C1C00 8097BC25
	v_mfma_f32_16x16x32_fp8_fp8 v[156:159], a[58:59], v[250:251], v[156:159]// 000000009460: D3F3009C 0E73F53A
	v_mfma_f32_16x16x32_fp8_fp8 v[156:159], a[60:61], v[252:253], v[156:159]// 000000009468: D3F3009C 0E73F93C
	v_mfma_f32_16x16x32_fp8_fp8 v[156:159], a[62:63], v[254:255], v[156:159]// 000000009470: D3F3009C 0E73FD3E
	s_waitcnt vmcnt(36)                                        // 000000009478: BF8C8F74
	v_mfma_f32_16x16x32_fp8_fp8 v[160:163], a[64:65], v[224:225], v[160:163]// 00000000947C: D3F300A0 0E83C140
	buffer_load_dwordx4 a[192:195], v38, s[92:95], 0 offen     // 000000009484: E05C1000 8097C026
	v_mfma_f32_16x16x32_fp8_fp8 v[160:163], a[66:67], v[226:227], v[160:163]// 00000000948C: D3F300A0 0E83C542
	v_mfma_f32_16x16x32_fp8_fp8 v[160:163], a[68:69], v[228:229], v[160:163]// 000000009494: D3F300A0 0E83C944
	v_mfma_f32_16x16x32_fp8_fp8 v[160:163], a[70:71], v[230:231], v[160:163]// 00000000949C: D3F300A0 0E83CD46
	v_mfma_f32_16x16x32_fp8_fp8 v[160:163], a[72:73], v[232:233], v[160:163]// 0000000094A4: D3F300A0 0E83D148
	buffer_load_dwordx4 a[196:199], v38, s[92:95], 0 offen offset:1024// 0000000094AC: E05C1400 8097C426
	v_mfma_f32_16x16x32_fp8_fp8 v[160:163], a[74:75], v[234:235], v[160:163]// 0000000094B4: D3F300A0 0E83D54A
	v_mfma_f32_16x16x32_fp8_fp8 v[160:163], a[76:77], v[236:237], v[160:163]// 0000000094BC: D3F300A0 0E83D94C
	v_mfma_f32_16x16x32_fp8_fp8 v[160:163], a[78:79], v[238:239], v[160:163]// 0000000094C4: D3F300A0 0E83DD4E
	v_mfma_f32_16x16x32_fp8_fp8 v[164:167], a[64:65], v[240:241], v[164:167]// 0000000094CC: D3F300A4 0E93E140
	buffer_load_dwordx4 a[200:203], v38, s[92:95], 0 offen offset:2048// 0000000094D4: E05C1800 8097C826
	v_mfma_f32_16x16x32_fp8_fp8 v[164:167], a[66:67], v[242:243], v[164:167]// 0000000094DC: D3F300A4 0E93E542
	v_mfma_f32_16x16x32_fp8_fp8 v[164:167], a[68:69], v[244:245], v[164:167]// 0000000094E4: D3F300A4 0E93E944
	v_mfma_f32_16x16x32_fp8_fp8 v[164:167], a[70:71], v[246:247], v[164:167]// 0000000094EC: D3F300A4 0E93ED46
	v_mfma_f32_16x16x32_fp8_fp8 v[164:167], a[72:73], v[248:249], v[164:167]// 0000000094F4: D3F300A4 0E93F148
	buffer_load_dwordx4 a[204:207], v38, s[92:95], 0 offen offset:3072// 0000000094FC: E05C1C00 8097CC26
	v_mfma_f32_16x16x32_fp8_fp8 v[164:167], a[74:75], v[250:251], v[164:167]// 000000009504: D3F300A4 0E93F54A
	v_mfma_f32_16x16x32_fp8_fp8 v[164:167], a[76:77], v[252:253], v[164:167]// 00000000950C: D3F300A4 0E93F94C
	v_mfma_f32_16x16x32_fp8_fp8 v[164:167], a[78:79], v[254:255], v[164:167]// 000000009514: D3F300A4 0E93FD4E
	s_waitcnt vmcnt(36)                                        // 00000000951C: BF8C8F74
	v_mfma_f32_16x16x32_fp8_fp8 v[168:171], a[80:81], v[224:225], v[168:171]// 000000009520: D3F300A8 0EA3C150
	buffer_load_dwordx4 a[208:211], v39, s[92:95], 0 offen     // 000000009528: E05C1000 8097D027
	v_mfma_f32_16x16x32_fp8_fp8 v[168:171], a[82:83], v[226:227], v[168:171]// 000000009530: D3F300A8 0EA3C552
	v_mfma_f32_16x16x32_fp8_fp8 v[168:171], a[84:85], v[228:229], v[168:171]// 000000009538: D3F300A8 0EA3C954
	v_mfma_f32_16x16x32_fp8_fp8 v[168:171], a[86:87], v[230:231], v[168:171]// 000000009540: D3F300A8 0EA3CD56
	v_mfma_f32_16x16x32_fp8_fp8 v[168:171], a[88:89], v[232:233], v[168:171]// 000000009548: D3F300A8 0EA3D158
	buffer_load_dwordx4 a[212:215], v39, s[92:95], 0 offen offset:1024// 000000009550: E05C1400 8097D427
	v_mfma_f32_16x16x32_fp8_fp8 v[168:171], a[90:91], v[234:235], v[168:171]// 000000009558: D3F300A8 0EA3D55A
	v_mfma_f32_16x16x32_fp8_fp8 v[168:171], a[92:93], v[236:237], v[168:171]// 000000009560: D3F300A8 0EA3D95C
	v_mfma_f32_16x16x32_fp8_fp8 v[168:171], a[94:95], v[238:239], v[168:171]// 000000009568: D3F300A8 0EA3DD5E
	v_mfma_f32_16x16x32_fp8_fp8 v[172:175], a[80:81], v[240:241], v[172:175]// 000000009570: D3F300AC 0EB3E150
	buffer_load_dwordx4 a[216:219], v39, s[92:95], 0 offen offset:2048// 000000009578: E05C1800 8097D827
	v_mfma_f32_16x16x32_fp8_fp8 v[172:175], a[82:83], v[242:243], v[172:175]// 000000009580: D3F300AC 0EB3E552
	v_mfma_f32_16x16x32_fp8_fp8 v[172:175], a[84:85], v[244:245], v[172:175]// 000000009588: D3F300AC 0EB3E954
	v_mfma_f32_16x16x32_fp8_fp8 v[172:175], a[86:87], v[246:247], v[172:175]// 000000009590: D3F300AC 0EB3ED56
	v_mfma_f32_16x16x32_fp8_fp8 v[172:175], a[88:89], v[248:249], v[172:175]// 000000009598: D3F300AC 0EB3F158
	buffer_load_dwordx4 a[220:223], v39, s[92:95], 0 offen offset:3072// 0000000095A0: E05C1C00 8097DC27
	v_mfma_f32_16x16x32_fp8_fp8 v[172:175], a[90:91], v[250:251], v[172:175]// 0000000095A8: D3F300AC 0EB3F55A
	v_mfma_f32_16x16x32_fp8_fp8 v[172:175], a[92:93], v[252:253], v[172:175]// 0000000095B0: D3F300AC 0EB3F95C
	v_mfma_f32_16x16x32_fp8_fp8 v[172:175], a[94:95], v[254:255], v[172:175]// 0000000095B8: D3F300AC 0EB3FD5E
	s_waitcnt vmcnt(36)                                        // 0000000095C0: BF8C8F74
	v_mfma_f32_16x16x32_fp8_fp8 v[176:179], a[96:97], v[224:225], v[176:179]// 0000000095C4: D3F300B0 0EC3C160
	buffer_load_dwordx4 a[224:227], v40, s[92:95], 0 offen     // 0000000095CC: E05C1000 8097E028
	v_mfma_f32_16x16x32_fp8_fp8 v[176:179], a[98:99], v[226:227], v[176:179]// 0000000095D4: D3F300B0 0EC3C562
	v_mfma_f32_16x16x32_fp8_fp8 v[176:179], a[100:101], v[228:229], v[176:179]// 0000000095DC: D3F300B0 0EC3C964
	v_mfma_f32_16x16x32_fp8_fp8 v[176:179], a[102:103], v[230:231], v[176:179]// 0000000095E4: D3F300B0 0EC3CD66
	v_mfma_f32_16x16x32_fp8_fp8 v[176:179], a[104:105], v[232:233], v[176:179]// 0000000095EC: D3F300B0 0EC3D168
	buffer_load_dwordx4 a[228:231], v40, s[92:95], 0 offen offset:1024// 0000000095F4: E05C1400 8097E428
	v_mfma_f32_16x16x32_fp8_fp8 v[176:179], a[106:107], v[234:235], v[176:179]// 0000000095FC: D3F300B0 0EC3D56A
	v_mfma_f32_16x16x32_fp8_fp8 v[176:179], a[108:109], v[236:237], v[176:179]// 000000009604: D3F300B0 0EC3D96C
	v_mfma_f32_16x16x32_fp8_fp8 v[176:179], a[110:111], v[238:239], v[176:179]// 00000000960C: D3F300B0 0EC3DD6E
	v_mfma_f32_16x16x32_fp8_fp8 v[180:183], a[96:97], v[240:241], v[180:183]// 000000009614: D3F300B4 0ED3E160
	buffer_load_dwordx4 a[232:235], v40, s[92:95], 0 offen offset:2048// 00000000961C: E05C1800 8097E828
	v_mfma_f32_16x16x32_fp8_fp8 v[180:183], a[98:99], v[242:243], v[180:183]// 000000009624: D3F300B4 0ED3E562
	v_mfma_f32_16x16x32_fp8_fp8 v[180:183], a[100:101], v[244:245], v[180:183]// 00000000962C: D3F300B4 0ED3E964
	v_mfma_f32_16x16x32_fp8_fp8 v[180:183], a[102:103], v[246:247], v[180:183]// 000000009634: D3F300B4 0ED3ED66
	v_mfma_f32_16x16x32_fp8_fp8 v[180:183], a[104:105], v[248:249], v[180:183]// 00000000963C: D3F300B4 0ED3F168
	buffer_load_dwordx4 a[236:239], v40, s[92:95], 0 offen offset:3072// 000000009644: E05C1C00 8097EC28
	v_mfma_f32_16x16x32_fp8_fp8 v[180:183], a[106:107], v[250:251], v[180:183]// 00000000964C: D3F300B4 0ED3F56A
	v_mfma_f32_16x16x32_fp8_fp8 v[180:183], a[108:109], v[252:253], v[180:183]// 000000009654: D3F300B4 0ED3F96C
	v_mfma_f32_16x16x32_fp8_fp8 v[180:183], a[110:111], v[254:255], v[180:183]// 00000000965C: D3F300B4 0ED3FD6E
	s_waitcnt vmcnt(36)                                        // 000000009664: BF8C8F74
	v_mfma_f32_16x16x32_fp8_fp8 v[184:187], a[112:113], v[224:225], v[184:187]// 000000009668: D3F300B8 0EE3C170
	buffer_load_dwordx4 a[240:243], v41, s[92:95], 0 offen     // 000000009670: E05C1000 8097F029
	v_mfma_f32_16x16x32_fp8_fp8 v[184:187], a[114:115], v[226:227], v[184:187]// 000000009678: D3F300B8 0EE3C572
	v_mfma_f32_16x16x32_fp8_fp8 v[184:187], a[116:117], v[228:229], v[184:187]// 000000009680: D3F300B8 0EE3C974
	v_mfma_f32_16x16x32_fp8_fp8 v[184:187], a[118:119], v[230:231], v[184:187]// 000000009688: D3F300B8 0EE3CD76
	v_mfma_f32_16x16x32_fp8_fp8 v[184:187], a[120:121], v[232:233], v[184:187]// 000000009690: D3F300B8 0EE3D178
	buffer_load_dwordx4 a[244:247], v41, s[92:95], 0 offen offset:1024// 000000009698: E05C1400 8097F429
	v_mfma_f32_16x16x32_fp8_fp8 v[184:187], a[122:123], v[234:235], v[184:187]// 0000000096A0: D3F300B8 0EE3D57A
	v_mfma_f32_16x16x32_fp8_fp8 v[184:187], a[124:125], v[236:237], v[184:187]// 0000000096A8: D3F300B8 0EE3D97C
	v_mfma_f32_16x16x32_fp8_fp8 v[184:187], a[126:127], v[238:239], v[184:187]// 0000000096B0: D3F300B8 0EE3DD7E
	v_mfma_f32_16x16x32_fp8_fp8 v[188:191], a[112:113], v[240:241], v[188:191]// 0000000096B8: D3F300BC 0EF3E170
	buffer_load_dwordx4 a[248:251], v41, s[92:95], 0 offen offset:2048// 0000000096C0: E05C1800 8097F829
	v_mfma_f32_16x16x32_fp8_fp8 v[188:191], a[114:115], v[242:243], v[188:191]// 0000000096C8: D3F300BC 0EF3E572
	v_mfma_f32_16x16x32_fp8_fp8 v[188:191], a[116:117], v[244:245], v[188:191]// 0000000096D0: D3F300BC 0EF3E974
	v_mfma_f32_16x16x32_fp8_fp8 v[188:191], a[118:119], v[246:247], v[188:191]// 0000000096D8: D3F300BC 0EF3ED76
	v_mfma_f32_16x16x32_fp8_fp8 v[188:191], a[120:121], v[248:249], v[188:191]// 0000000096E0: D3F300BC 0EF3F178
	buffer_load_dwordx4 a[252:255], v41, s[92:95], 0 offen offset:3072// 0000000096E8: E05C1C00 8097FC29
	v_mfma_f32_16x16x32_fp8_fp8 v[188:191], a[122:123], v[250:251], v[188:191]// 0000000096F0: D3F300BC 0EF3F57A
	v_mfma_f32_16x16x32_fp8_fp8 v[188:191], a[124:125], v[252:253], v[188:191]// 0000000096F8: D3F300BC 0EF3F97C
	v_mfma_f32_16x16x32_fp8_fp8 v[188:191], a[126:127], v[254:255], v[188:191]// 000000009700: D3F300BC 0EF3FD7E
	s_waitcnt vmcnt(24)                                        // 000000009708: BF8C4F78
	s_barrier                                                  // 00000000970C: BF8A0000
	v_mfma_f32_16x16x32_fp8_fp8 v[64:67], a[128:129], v[224:225], v[64:67]// 000000009710: D3F30040 0D03C180
	buffer_load_dwordx4 a[0:3], v34, s[24:27], 0 offen         // 000000009718: E05C1000 80860022
	v_mfma_f32_16x16x32_fp8_fp8 v[64:67], a[130:131], v[226:227], v[64:67]// 000000009720: D3F30040 0D03C582
	v_mfma_f32_16x16x32_fp8_fp8 v[64:67], a[132:133], v[228:229], v[64:67]// 000000009728: D3F30040 0D03C984
	v_mfma_f32_16x16x32_fp8_fp8 v[64:67], a[134:135], v[230:231], v[64:67]// 000000009730: D3F30040 0D03CD86
	v_mfma_f32_16x16x32_fp8_fp8 v[64:67], a[136:137], v[232:233], v[64:67]// 000000009738: D3F30040 0D03D188
	buffer_load_dwordx4 a[4:7], v34, s[24:27], 0 offen offset:1024// 000000009740: E05C1400 80860422
	v_mfma_f32_16x16x32_fp8_fp8 v[64:67], a[138:139], v[234:235], v[64:67]// 000000009748: D3F30040 0D03D58A
	v_mfma_f32_16x16x32_fp8_fp8 v[64:67], a[140:141], v[236:237], v[64:67]// 000000009750: D3F30040 0D03D98C
	v_mfma_f32_16x16x32_fp8_fp8 v[64:67], a[142:143], v[238:239], v[64:67]// 000000009758: D3F30040 0D03DD8E
	v_mfma_f32_16x16x32_fp8_fp8 v[68:71], a[128:129], v[240:241], v[68:71]// 000000009760: D3F30044 0D13E180
	buffer_load_dwordx4 a[8:11], v34, s[24:27], 0 offen offset:2048// 000000009768: E05C1800 80860822
	v_mfma_f32_16x16x32_fp8_fp8 v[68:71], a[130:131], v[242:243], v[68:71]// 000000009770: D3F30044 0D13E582
	v_mfma_f32_16x16x32_fp8_fp8 v[68:71], a[132:133], v[244:245], v[68:71]// 000000009778: D3F30044 0D13E984
	v_mfma_f32_16x16x32_fp8_fp8 v[68:71], a[134:135], v[246:247], v[68:71]// 000000009780: D3F30044 0D13ED86
	v_mfma_f32_16x16x32_fp8_fp8 v[68:71], a[136:137], v[248:249], v[68:71]// 000000009788: D3F30044 0D13F188
	buffer_load_dwordx4 a[12:15], v34, s[24:27], 0 offen offset:3072// 000000009790: E05C1C00 80860C22
	v_mfma_f32_16x16x32_fp8_fp8 v[68:71], a[138:139], v[250:251], v[68:71]// 000000009798: D3F30044 0D13F58A
	v_mfma_f32_16x16x32_fp8_fp8 v[68:71], a[140:141], v[252:253], v[68:71]// 0000000097A0: D3F30044 0D13F98C
	v_mfma_f32_16x16x32_fp8_fp8 v[68:71], a[142:143], v[254:255], v[68:71]// 0000000097A8: D3F30044 0D13FD8E
	v_mfma_f32_16x16x32_fp8_fp8 v[72:75], a[144:145], v[224:225], v[72:75]// 0000000097B0: D3F30048 0D23C190
	buffer_load_dwordx4 a[16:19], v35, s[24:27], 0 offen       // 0000000097B8: E05C1000 80861023
	v_mfma_f32_16x16x32_fp8_fp8 v[72:75], a[146:147], v[226:227], v[72:75]// 0000000097C0: D3F30048 0D23C592
	v_mfma_f32_16x16x32_fp8_fp8 v[72:75], a[148:149], v[228:229], v[72:75]// 0000000097C8: D3F30048 0D23C994
	v_mfma_f32_16x16x32_fp8_fp8 v[72:75], a[150:151], v[230:231], v[72:75]// 0000000097D0: D3F30048 0D23CD96
	v_mfma_f32_16x16x32_fp8_fp8 v[72:75], a[152:153], v[232:233], v[72:75]// 0000000097D8: D3F30048 0D23D198
	buffer_load_dwordx4 a[20:23], v35, s[24:27], 0 offen offset:1024// 0000000097E0: E05C1400 80861423
	v_mfma_f32_16x16x32_fp8_fp8 v[72:75], a[154:155], v[234:235], v[72:75]// 0000000097E8: D3F30048 0D23D59A
	v_mfma_f32_16x16x32_fp8_fp8 v[72:75], a[156:157], v[236:237], v[72:75]// 0000000097F0: D3F30048 0D23D99C
	v_mfma_f32_16x16x32_fp8_fp8 v[72:75], a[158:159], v[238:239], v[72:75]// 0000000097F8: D3F30048 0D23DD9E
	v_mfma_f32_16x16x32_fp8_fp8 v[76:79], a[144:145], v[240:241], v[76:79]// 000000009800: D3F3004C 0D33E190
	buffer_load_dwordx4 a[24:27], v35, s[24:27], 0 offen offset:2048// 000000009808: E05C1800 80861823
	v_mfma_f32_16x16x32_fp8_fp8 v[76:79], a[146:147], v[242:243], v[76:79]// 000000009810: D3F3004C 0D33E592
	v_mfma_f32_16x16x32_fp8_fp8 v[76:79], a[148:149], v[244:245], v[76:79]// 000000009818: D3F3004C 0D33E994
	v_mfma_f32_16x16x32_fp8_fp8 v[76:79], a[150:151], v[246:247], v[76:79]// 000000009820: D3F3004C 0D33ED96
	v_mfma_f32_16x16x32_fp8_fp8 v[76:79], a[152:153], v[248:249], v[76:79]// 000000009828: D3F3004C 0D33F198
	buffer_load_dwordx4 a[28:31], v35, s[24:27], 0 offen offset:3072// 000000009830: E05C1C00 80861C23
	v_mfma_f32_16x16x32_fp8_fp8 v[76:79], a[154:155], v[250:251], v[76:79]// 000000009838: D3F3004C 0D33F59A
	v_mfma_f32_16x16x32_fp8_fp8 v[76:79], a[156:157], v[252:253], v[76:79]// 000000009840: D3F3004C 0D33F99C
	v_mfma_f32_16x16x32_fp8_fp8 v[76:79], a[158:159], v[254:255], v[76:79]// 000000009848: D3F3004C 0D33FD9E
	s_waitcnt vmcnt(28)                                        // 000000009850: BF8C4F7C
	v_mfma_f32_16x16x32_fp8_fp8 v[80:83], a[160:161], v[224:225], v[80:83]// 000000009854: D3F30050 0D43C1A0
	buffer_load_dwordx4 a[32:35], v36, s[24:27], 0 offen       // 00000000985C: E05C1000 80862024
	v_mfma_f32_16x16x32_fp8_fp8 v[80:83], a[162:163], v[226:227], v[80:83]// 000000009864: D3F30050 0D43C5A2
	v_mfma_f32_16x16x32_fp8_fp8 v[80:83], a[164:165], v[228:229], v[80:83]// 00000000986C: D3F30050 0D43C9A4
	ds_read_b128 v[192:195], v2                                // 000000009874: D9FE0000 C0000002
	v_mfma_f32_16x16x32_fp8_fp8 v[80:83], a[166:167], v[230:231], v[80:83]// 00000000987C: D3F30050 0D43CDA6
	v_mfma_f32_16x16x32_fp8_fp8 v[80:83], a[168:169], v[232:233], v[80:83]// 000000009884: D3F30050 0D43D1A8
	buffer_load_dwordx4 a[36:39], v36, s[24:27], 0 offen offset:1024// 00000000988C: E05C1400 80862424
	v_mfma_f32_16x16x32_fp8_fp8 v[80:83], a[170:171], v[234:235], v[80:83]// 000000009894: D3F30050 0D43D5AA
	v_mfma_f32_16x16x32_fp8_fp8 v[80:83], a[172:173], v[236:237], v[80:83]// 00000000989C: D3F30050 0D43D9AC
	ds_read_b128 v[196:199], v2 offset:64                      // 0000000098A4: D9FE0040 C4000002
	v_mfma_f32_16x16x32_fp8_fp8 v[80:83], a[174:175], v[238:239], v[80:83]// 0000000098AC: D3F30050 0D43DDAE
	v_mfma_f32_16x16x32_fp8_fp8 v[84:87], a[160:161], v[240:241], v[84:87]// 0000000098B4: D3F30054 0D53E1A0
	buffer_load_dwordx4 a[40:43], v36, s[24:27], 0 offen offset:2048// 0000000098BC: E05C1800 80862824
	v_mfma_f32_16x16x32_fp8_fp8 v[84:87], a[162:163], v[242:243], v[84:87]// 0000000098C4: D3F30054 0D53E5A2
	v_mfma_f32_16x16x32_fp8_fp8 v[84:87], a[164:165], v[244:245], v[84:87]// 0000000098CC: D3F30054 0D53E9A4
	ds_read_b128 v[200:203], v2 offset:128                     // 0000000098D4: D9FE0080 C8000002
	v_mfma_f32_16x16x32_fp8_fp8 v[84:87], a[166:167], v[246:247], v[84:87]// 0000000098DC: D3F30054 0D53EDA6
	v_mfma_f32_16x16x32_fp8_fp8 v[84:87], a[168:169], v[248:249], v[84:87]// 0000000098E4: D3F30054 0D53F1A8
	buffer_load_dwordx4 a[44:47], v36, s[24:27], 0 offen offset:3072// 0000000098EC: E05C1C00 80862C24
	v_mfma_f32_16x16x32_fp8_fp8 v[84:87], a[170:171], v[250:251], v[84:87]// 0000000098F4: D3F30054 0D53F5AA
	v_mfma_f32_16x16x32_fp8_fp8 v[84:87], a[172:173], v[252:253], v[84:87]// 0000000098FC: D3F30054 0D53F9AC
	ds_read_b128 v[204:207], v2 offset:192                     // 000000009904: D9FE00C0 CC000002
	v_mfma_f32_16x16x32_fp8_fp8 v[84:87], a[174:175], v[254:255], v[84:87]// 00000000990C: D3F30054 0D53FDAE
	s_waitcnt vmcnt(28)                                        // 000000009914: BF8C4F7C
	v_mfma_f32_16x16x32_fp8_fp8 v[88:91], a[176:177], v[224:225], v[88:91]// 000000009918: D3F30058 0D63C1B0
	buffer_load_dwordx4 a[48:51], v37, s[24:27], 0 offen       // 000000009920: E05C1000 80863025
	v_mfma_f32_16x16x32_fp8_fp8 v[88:91], a[178:179], v[226:227], v[88:91]// 000000009928: D3F30058 0D63C5B2
	v_mfma_f32_16x16x32_fp8_fp8 v[88:91], a[180:181], v[228:229], v[88:91]// 000000009930: D3F30058 0D63C9B4
	ds_read_b128 v[208:211], v2 offset:1024                    // 000000009938: D9FE0400 D0000002
	v_mfma_f32_16x16x32_fp8_fp8 v[88:91], a[182:183], v[230:231], v[88:91]// 000000009940: D3F30058 0D63CDB6
	v_mfma_f32_16x16x32_fp8_fp8 v[88:91], a[184:185], v[232:233], v[88:91]// 000000009948: D3F30058 0D63D1B8
	buffer_load_dwordx4 a[52:55], v37, s[24:27], 0 offen offset:1024// 000000009950: E05C1400 80863425
	v_mfma_f32_16x16x32_fp8_fp8 v[88:91], a[186:187], v[234:235], v[88:91]// 000000009958: D3F30058 0D63D5BA
	v_mfma_f32_16x16x32_fp8_fp8 v[88:91], a[188:189], v[236:237], v[88:91]// 000000009960: D3F30058 0D63D9BC
	ds_read_b128 v[212:215], v2 offset:1088                    // 000000009968: D9FE0440 D4000002
	v_mfma_f32_16x16x32_fp8_fp8 v[88:91], a[190:191], v[238:239], v[88:91]// 000000009970: D3F30058 0D63DDBE
	v_mfma_f32_16x16x32_fp8_fp8 v[92:95], a[176:177], v[240:241], v[92:95]// 000000009978: D3F3005C 0D73E1B0
	buffer_load_dwordx4 a[56:59], v37, s[24:27], 0 offen offset:2048// 000000009980: E05C1800 80863825
	v_mfma_f32_16x16x32_fp8_fp8 v[92:95], a[178:179], v[242:243], v[92:95]// 000000009988: D3F3005C 0D73E5B2
	v_mfma_f32_16x16x32_fp8_fp8 v[92:95], a[180:181], v[244:245], v[92:95]// 000000009990: D3F3005C 0D73E9B4
	ds_read_b128 v[216:219], v2 offset:1152                    // 000000009998: D9FE0480 D8000002
	v_mfma_f32_16x16x32_fp8_fp8 v[92:95], a[182:183], v[246:247], v[92:95]// 0000000099A0: D3F3005C 0D73EDB6
	v_mfma_f32_16x16x32_fp8_fp8 v[92:95], a[184:185], v[248:249], v[92:95]// 0000000099A8: D3F3005C 0D73F1B8
	buffer_load_dwordx4 a[60:63], v37, s[24:27], 0 offen offset:3072// 0000000099B0: E05C1C00 80863C25
	v_mfma_f32_16x16x32_fp8_fp8 v[92:95], a[186:187], v[250:251], v[92:95]// 0000000099B8: D3F3005C 0D73F5BA
	v_mfma_f32_16x16x32_fp8_fp8 v[92:95], a[188:189], v[252:253], v[92:95]// 0000000099C0: D3F3005C 0D73F9BC
	ds_read_b128 v[220:223], v2 offset:1216                    // 0000000099C8: D9FE04C0 DC000002
	v_mfma_f32_16x16x32_fp8_fp8 v[92:95], a[190:191], v[254:255], v[92:95]// 0000000099D0: D3F3005C 0D73FDBE
	s_waitcnt vmcnt(28)                                        // 0000000099D8: BF8C4F7C
	v_mfma_f32_16x16x32_fp8_fp8 v[96:99], a[192:193], v[224:225], v[96:99]// 0000000099DC: D3F30060 0D83C1C0
	buffer_load_dwordx4 a[64:67], v38, s[24:27], 0 offen       // 0000000099E4: E05C1000 80864026
	v_mfma_f32_16x16x32_fp8_fp8 v[96:99], a[194:195], v[226:227], v[96:99]// 0000000099EC: D3F30060 0D83C5C2
	v_mfma_f32_16x16x32_fp8_fp8 v[96:99], a[196:197], v[228:229], v[96:99]// 0000000099F4: D3F30060 0D83C9C4
	v_mfma_f32_16x16x32_fp8_fp8 v[96:99], a[198:199], v[230:231], v[96:99]// 0000000099FC: D3F30060 0D83CDC6
	v_mfma_f32_16x16x32_fp8_fp8 v[96:99], a[200:201], v[232:233], v[96:99]// 000000009A04: D3F30060 0D83D1C8
	buffer_load_dwordx4 a[68:71], v38, s[24:27], 0 offen offset:1024// 000000009A0C: E05C1400 80864426
	v_mfma_f32_16x16x32_fp8_fp8 v[96:99], a[202:203], v[234:235], v[96:99]// 000000009A14: D3F30060 0D83D5CA
	v_mfma_f32_16x16x32_fp8_fp8 v[96:99], a[204:205], v[236:237], v[96:99]// 000000009A1C: D3F30060 0D83D9CC
	v_mfma_f32_16x16x32_fp8_fp8 v[96:99], a[206:207], v[238:239], v[96:99]// 000000009A24: D3F30060 0D83DDCE
	v_mfma_f32_16x16x32_fp8_fp8 v[100:103], a[192:193], v[240:241], v[100:103]// 000000009A2C: D3F30064 0D93E1C0
	buffer_load_dwordx4 a[72:75], v38, s[24:27], 0 offen offset:2048// 000000009A34: E05C1800 80864826
	v_mfma_f32_16x16x32_fp8_fp8 v[100:103], a[194:195], v[242:243], v[100:103]// 000000009A3C: D3F30064 0D93E5C2
	v_mfma_f32_16x16x32_fp8_fp8 v[100:103], a[196:197], v[244:245], v[100:103]// 000000009A44: D3F30064 0D93E9C4
	v_mfma_f32_16x16x32_fp8_fp8 v[100:103], a[198:199], v[246:247], v[100:103]// 000000009A4C: D3F30064 0D93EDC6
	v_mfma_f32_16x16x32_fp8_fp8 v[100:103], a[200:201], v[248:249], v[100:103]// 000000009A54: D3F30064 0D93F1C8
	buffer_load_dwordx4 a[76:79], v38, s[24:27], 0 offen offset:3072// 000000009A5C: E05C1C00 80864C26
	v_mfma_f32_16x16x32_fp8_fp8 v[100:103], a[202:203], v[250:251], v[100:103]// 000000009A64: D3F30064 0D93F5CA
	v_mfma_f32_16x16x32_fp8_fp8 v[100:103], a[204:205], v[252:253], v[100:103]// 000000009A6C: D3F30064 0D93F9CC
	v_mfma_f32_16x16x32_fp8_fp8 v[100:103], a[206:207], v[254:255], v[100:103]// 000000009A74: D3F30064 0D93FDCE
	s_waitcnt vmcnt(28)                                        // 000000009A7C: BF8C4F7C
	v_mfma_f32_16x16x32_fp8_fp8 v[104:107], a[208:209], v[224:225], v[104:107]// 000000009A80: D3F30068 0DA3C1D0
	buffer_load_dwordx4 a[80:83], v39, s[24:27], 0 offen       // 000000009A88: E05C1000 80865027
	v_mfma_f32_16x16x32_fp8_fp8 v[104:107], a[210:211], v[226:227], v[104:107]// 000000009A90: D3F30068 0DA3C5D2
	v_mfma_f32_16x16x32_fp8_fp8 v[104:107], a[212:213], v[228:229], v[104:107]// 000000009A98: D3F30068 0DA3C9D4
	v_mfma_f32_16x16x32_fp8_fp8 v[104:107], a[214:215], v[230:231], v[104:107]// 000000009AA0: D3F30068 0DA3CDD6
	v_mfma_f32_16x16x32_fp8_fp8 v[104:107], a[216:217], v[232:233], v[104:107]// 000000009AA8: D3F30068 0DA3D1D8
	buffer_load_dwordx4 a[84:87], v39, s[24:27], 0 offen offset:1024// 000000009AB0: E05C1400 80865427
	v_mfma_f32_16x16x32_fp8_fp8 v[104:107], a[218:219], v[234:235], v[104:107]// 000000009AB8: D3F30068 0DA3D5DA
	v_mfma_f32_16x16x32_fp8_fp8 v[104:107], a[220:221], v[236:237], v[104:107]// 000000009AC0: D3F30068 0DA3D9DC
	v_mfma_f32_16x16x32_fp8_fp8 v[104:107], a[222:223], v[238:239], v[104:107]// 000000009AC8: D3F30068 0DA3DDDE
	v_mfma_f32_16x16x32_fp8_fp8 v[108:111], a[208:209], v[240:241], v[108:111]// 000000009AD0: D3F3006C 0DB3E1D0
	buffer_load_dwordx4 a[88:91], v39, s[24:27], 0 offen offset:2048// 000000009AD8: E05C1800 80865827
	v_mfma_f32_16x16x32_fp8_fp8 v[108:111], a[210:211], v[242:243], v[108:111]// 000000009AE0: D3F3006C 0DB3E5D2
	v_mfma_f32_16x16x32_fp8_fp8 v[108:111], a[212:213], v[244:245], v[108:111]// 000000009AE8: D3F3006C 0DB3E9D4
	v_mfma_f32_16x16x32_fp8_fp8 v[108:111], a[214:215], v[246:247], v[108:111]// 000000009AF0: D3F3006C 0DB3EDD6
	v_mfma_f32_16x16x32_fp8_fp8 v[108:111], a[216:217], v[248:249], v[108:111]// 000000009AF8: D3F3006C 0DB3F1D8
	buffer_load_dwordx4 a[92:95], v39, s[24:27], 0 offen offset:3072// 000000009B00: E05C1C00 80865C27
	v_mfma_f32_16x16x32_fp8_fp8 v[108:111], a[218:219], v[250:251], v[108:111]// 000000009B08: D3F3006C 0DB3F5DA
	v_mfma_f32_16x16x32_fp8_fp8 v[108:111], a[220:221], v[252:253], v[108:111]// 000000009B10: D3F3006C 0DB3F9DC
	v_mfma_f32_16x16x32_fp8_fp8 v[108:111], a[222:223], v[254:255], v[108:111]// 000000009B18: D3F3006C 0DB3FDDE
	s_waitcnt vmcnt(28)                                        // 000000009B20: BF8C4F7C
	v_mfma_f32_16x16x32_fp8_fp8 v[112:115], a[224:225], v[224:225], v[112:115]// 000000009B24: D3F30070 0DC3C1E0
	buffer_load_dwordx4 a[96:99], v40, s[24:27], 0 offen       // 000000009B2C: E05C1000 80866028
	v_mfma_f32_16x16x32_fp8_fp8 v[112:115], a[226:227], v[226:227], v[112:115]// 000000009B34: D3F30070 0DC3C5E2
	v_mfma_f32_16x16x32_fp8_fp8 v[112:115], a[228:229], v[228:229], v[112:115]// 000000009B3C: D3F30070 0DC3C9E4
	v_mfma_f32_16x16x32_fp8_fp8 v[112:115], a[230:231], v[230:231], v[112:115]// 000000009B44: D3F30070 0DC3CDE6
	v_mfma_f32_16x16x32_fp8_fp8 v[112:115], a[232:233], v[232:233], v[112:115]// 000000009B4C: D3F30070 0DC3D1E8
	buffer_load_dwordx4 a[100:103], v40, s[24:27], 0 offen offset:1024// 000000009B54: E05C1400 80866428
	v_mfma_f32_16x16x32_fp8_fp8 v[112:115], a[234:235], v[234:235], v[112:115]// 000000009B5C: D3F30070 0DC3D5EA
	v_mfma_f32_16x16x32_fp8_fp8 v[112:115], a[236:237], v[236:237], v[112:115]// 000000009B64: D3F30070 0DC3D9EC
	v_mfma_f32_16x16x32_fp8_fp8 v[112:115], a[238:239], v[238:239], v[112:115]// 000000009B6C: D3F30070 0DC3DDEE
	v_mfma_f32_16x16x32_fp8_fp8 v[116:119], a[224:225], v[240:241], v[116:119]// 000000009B74: D3F30074 0DD3E1E0
	buffer_load_dwordx4 a[104:107], v40, s[24:27], 0 offen offset:2048// 000000009B7C: E05C1800 80866828
	v_mfma_f32_16x16x32_fp8_fp8 v[116:119], a[226:227], v[242:243], v[116:119]// 000000009B84: D3F30074 0DD3E5E2
	v_mfma_f32_16x16x32_fp8_fp8 v[116:119], a[228:229], v[244:245], v[116:119]// 000000009B8C: D3F30074 0DD3E9E4
	v_mfma_f32_16x16x32_fp8_fp8 v[116:119], a[230:231], v[246:247], v[116:119]// 000000009B94: D3F30074 0DD3EDE6
	v_mfma_f32_16x16x32_fp8_fp8 v[116:119], a[232:233], v[248:249], v[116:119]// 000000009B9C: D3F30074 0DD3F1E8
	buffer_load_dwordx4 a[108:111], v40, s[24:27], 0 offen offset:3072// 000000009BA4: E05C1C00 80866C28
	v_mfma_f32_16x16x32_fp8_fp8 v[116:119], a[234:235], v[250:251], v[116:119]// 000000009BAC: D3F30074 0DD3F5EA
	v_mfma_f32_16x16x32_fp8_fp8 v[116:119], a[236:237], v[252:253], v[116:119]// 000000009BB4: D3F30074 0DD3F9EC
	v_mfma_f32_16x16x32_fp8_fp8 v[116:119], a[238:239], v[254:255], v[116:119]// 000000009BBC: D3F30074 0DD3FDEE
	s_waitcnt vmcnt(28)                                        // 000000009BC4: BF8C4F7C
	v_mfma_f32_16x16x32_fp8_fp8 v[120:123], a[240:241], v[224:225], v[120:123]// 000000009BC8: D3F30078 0DE3C1F0
	buffer_load_dwordx4 a[112:115], v41, s[24:27], 0 offen     // 000000009BD0: E05C1000 80867029
	v_mfma_f32_16x16x32_fp8_fp8 v[120:123], a[242:243], v[226:227], v[120:123]// 000000009BD8: D3F30078 0DE3C5F2
	v_mfma_f32_16x16x32_fp8_fp8 v[120:123], a[244:245], v[228:229], v[120:123]// 000000009BE0: D3F30078 0DE3C9F4
	v_mfma_f32_16x16x32_fp8_fp8 v[120:123], a[246:247], v[230:231], v[120:123]// 000000009BE8: D3F30078 0DE3CDF6
	v_mfma_f32_16x16x32_fp8_fp8 v[120:123], a[248:249], v[232:233], v[120:123]// 000000009BF0: D3F30078 0DE3D1F8
	buffer_load_dwordx4 a[116:119], v41, s[24:27], 0 offen offset:1024// 000000009BF8: E05C1400 80867429
	v_mfma_f32_16x16x32_fp8_fp8 v[120:123], a[250:251], v[234:235], v[120:123]// 000000009C00: D3F30078 0DE3D5FA
	v_mfma_f32_16x16x32_fp8_fp8 v[120:123], a[252:253], v[236:237], v[120:123]// 000000009C08: D3F30078 0DE3D9FC
	v_mfma_f32_16x16x32_fp8_fp8 v[120:123], a[254:255], v[238:239], v[120:123]// 000000009C10: D3F30078 0DE3DDFE
	v_mfma_f32_16x16x32_fp8_fp8 v[124:127], a[240:241], v[240:241], v[124:127]// 000000009C18: D3F3007C 0DF3E1F0
	buffer_load_dwordx4 a[120:123], v41, s[24:27], 0 offen offset:2048// 000000009C20: E05C1800 80867829
	v_mfma_f32_16x16x32_fp8_fp8 v[124:127], a[242:243], v[242:243], v[124:127]// 000000009C28: D3F3007C 0DF3E5F2
	v_mfma_f32_16x16x32_fp8_fp8 v[124:127], a[244:245], v[244:245], v[124:127]// 000000009C30: D3F3007C 0DF3E9F4
	v_mfma_f32_16x16x32_fp8_fp8 v[124:127], a[246:247], v[246:247], v[124:127]// 000000009C38: D3F3007C 0DF3EDF6
	v_mfma_f32_16x16x32_fp8_fp8 v[124:127], a[248:249], v[248:249], v[124:127]// 000000009C40: D3F3007C 0DF3F1F8
	buffer_load_dwordx4 a[124:127], v41, s[24:27], 0 offen offset:3072// 000000009C48: E05C1C00 80867C29
	v_mfma_f32_16x16x32_fp8_fp8 v[124:127], a[250:251], v[250:251], v[124:127]// 000000009C50: D3F3007C 0DF3F5FA
	v_mfma_f32_16x16x32_fp8_fp8 v[124:127], a[252:253], v[252:253], v[124:127]// 000000009C58: D3F3007C 0DF3F9FC
	v_mfma_f32_16x16x32_fp8_fp8 v[124:127], a[254:255], v[254:255], v[124:127]// 000000009C60: D3F3007C 0DF3FDFE
	s_add_u32 s60, 0x200, s80                                  // 000000009C68: 803C50FF 00000200
	s_cmp_lt_u32 s60, s81                                      // 000000009C70: BF0A513C
	s_cselect_b32 s57, s57, 0                                  // 000000009C74: 85398039
	s_add_u32 s60, 0x200, s80                                  // 000000009C78: 803C50FF 00000200
	s_cmp_lt_u32 s60, s81                                      // 000000009C80: BF0A513C
	s_cselect_b32 s58, s58, 0                                  // 000000009C84: 853A803A
	s_add_u32 s20, s57, s20                                    // 000000009C88: 80141439
	s_addc_u32 s21, 0, s21                                     // 000000009C8C: 82151580
	s_add_u32 s24, s58, s24                                    // 000000009C90: 8018183A
	s_addc_u32 s25, 0, s25                                     // 000000009C94: 82191980
	s_add_u32 s92, s90, s92                                    // 000000009C98: 805C5C5A
	s_addc_u32 s93, 0, s93                                     // 000000009C9C: 825D5D80
	s_addk_i32 s80, 0x100                                      // 000000009CA0: B7500100
	s_cmp_lt_i32 s80, s81                                      // 000000009CA4: BF045150
	s_cbranch_scc0 label_1BAC                                  // 000000009CA8: BF840001
	s_branch label_160B                                        // 000000009CAC: BF82FA5F

0000000000009cb0 <label_1BAC>:
	s_mov_b32 s36, -1                                          // 000000009CB0: BEA400C1
	s_mov_b32 s37, -1                                          // 000000009CB4: BEA500C1
	s_mov_b64 s[60:61], 0                                      // 000000009CB8: BEBC0180
	s_cmp_lt_u32 s82, s66                                      // 000000009CBC: BF0A4252
	s_cselect_b64 s[20:21], s[36:37], s[60:61]                 // 000000009CC0: 85943C24
	s_cmp_lt_u32 s83, s66                                      // 000000009CC4: BF0A4253
	s_cselect_b64 s[22:23], s[36:37], s[60:61]                 // 000000009CC8: 85963C24
	s_cmp_lt_u32 s84, s66                                      // 000000009CCC: BF0A4254
	s_cselect_b64 s[24:25], s[36:37], s[60:61]                 // 000000009CD0: 85983C24
	s_cmp_lt_u32 s85, s66                                      // 000000009CD4: BF0A4255
	s_cselect_b64 s[26:27], s[36:37], s[60:61]                 // 000000009CD8: 859A3C24
	s_cmp_lt_u32 s86, s66                                      // 000000009CDC: BF0A4256
	s_cselect_b64 s[28:29], s[36:37], s[60:61]                 // 000000009CE0: 859C3C24
	s_cmp_lt_u32 s87, s66                                      // 000000009CE4: BF0A4257
	s_cselect_b64 s[30:31], s[36:37], s[60:61]                 // 000000009CE8: 859E3C24
	s_cmp_lt_u32 s88, s66                                      // 000000009CEC: BF0A4258
	s_cselect_b64 s[32:33], s[36:37], s[60:61]                 // 000000009CF0: 85A03C24
	s_cmp_lt_u32 s89, s66                                      // 000000009CF4: BF0A4259
	s_cselect_b64 s[34:35], s[36:37], s[60:61]                 // 000000009CF8: 85A23C24
	v_mul_f32_e32 v128, v14, v128                              // 000000009CFC: 0B01010E
	v_mul_f32_e32 v129, v14, v129                              // 000000009D00: 0B03030E
	v_mul_f32_e32 v130, v14, v130                              // 000000009D04: 0B05050E
	v_mul_f32_e32 v131, v14, v131                              // 000000009D08: 0B07070E
	v_mul_f32_dpp v128, v16, v128 row_newbcast:0 row_mask:0xf bank_mask:0xf// 000000009D0C: 0B0100FA FF015010
	v_mul_f32_dpp v129, v16, v129 row_newbcast:1 row_mask:0xf bank_mask:0xf// 000000009D14: 0B0302FA FF015110
	v_mul_f32_dpp v130, v16, v130 row_newbcast:2 row_mask:0xf bank_mask:0xf// 000000009D1C: 0B0504FA FF015210
	v_mul_f32_dpp v131, v16, v131 row_newbcast:3 row_mask:0xf bank_mask:0xf// 000000009D24: 0B0706FA FF015310
	v_mul_f32_e32 v132, v15, v132                              // 000000009D2C: 0B09090F
	v_mul_f32_e32 v133, v15, v133                              // 000000009D30: 0B0B0B0F
	v_mul_f32_e32 v134, v15, v134                              // 000000009D34: 0B0D0D0F
	v_mul_f32_e32 v135, v15, v135                              // 000000009D38: 0B0F0F0F
	v_mul_f32_dpp v132, v16, v132 row_newbcast:0 row_mask:0xf bank_mask:0xf// 000000009D3C: 0B0908FA FF015010
	v_mul_f32_dpp v133, v16, v133 row_newbcast:1 row_mask:0xf bank_mask:0xf// 000000009D44: 0B0B0AFA FF015110
	v_mul_f32_dpp v134, v16, v134 row_newbcast:2 row_mask:0xf bank_mask:0xf// 000000009D4C: 0B0D0CFA FF015210
	v_mul_f32_dpp v135, v16, v135 row_newbcast:3 row_mask:0xf bank_mask:0xf// 000000009D54: 0B0F0EFA FF015310
	v_mul_f32_e32 v136, v14, v136                              // 000000009D5C: 0B11110E
	v_mul_f32_e32 v137, v14, v137                              // 000000009D60: 0B13130E
	v_mul_f32_e32 v138, v14, v138                              // 000000009D64: 0B15150E
	v_mul_f32_e32 v139, v14, v139                              // 000000009D68: 0B17170E
	v_mul_f32_dpp v136, v16, v136 row_newbcast:4 row_mask:0xf bank_mask:0xf// 000000009D6C: 0B1110FA FF015410
	v_mul_f32_dpp v137, v16, v137 row_newbcast:5 row_mask:0xf bank_mask:0xf// 000000009D74: 0B1312FA FF015510
	v_mul_f32_dpp v138, v16, v138 row_newbcast:6 row_mask:0xf bank_mask:0xf// 000000009D7C: 0B1514FA FF015610
	v_mul_f32_dpp v139, v16, v139 row_newbcast:7 row_mask:0xf bank_mask:0xf// 000000009D84: 0B1716FA FF015710
	v_mul_f32_e32 v140, v15, v140                              // 000000009D8C: 0B19190F
	v_mul_f32_e32 v141, v15, v141                              // 000000009D90: 0B1B1B0F
	v_mul_f32_e32 v142, v15, v142                              // 000000009D94: 0B1D1D0F
	v_mul_f32_e32 v143, v15, v143                              // 000000009D98: 0B1F1F0F
	v_mul_f32_dpp v140, v16, v140 row_newbcast:4 row_mask:0xf bank_mask:0xf// 000000009D9C: 0B1918FA FF015410
	v_mul_f32_dpp v141, v16, v141 row_newbcast:5 row_mask:0xf bank_mask:0xf// 000000009DA4: 0B1B1AFA FF015510
	v_mul_f32_dpp v142, v16, v142 row_newbcast:6 row_mask:0xf bank_mask:0xf// 000000009DAC: 0B1D1CFA FF015610
	v_mul_f32_dpp v143, v16, v143 row_newbcast:7 row_mask:0xf bank_mask:0xf// 000000009DB4: 0B1F1EFA FF015710
	v_mul_f32_e32 v144, v14, v144                              // 000000009DBC: 0B21210E
	v_mul_f32_e32 v145, v14, v145                              // 000000009DC0: 0B23230E
	v_mul_f32_e32 v146, v14, v146                              // 000000009DC4: 0B25250E
	v_mul_f32_e32 v147, v14, v147                              // 000000009DC8: 0B27270E
	v_mul_f32_dpp v144, v16, v144 row_newbcast:8 row_mask:0xf bank_mask:0xf// 000000009DCC: 0B2120FA FF015810
	v_mul_f32_dpp v145, v16, v145 row_newbcast:9 row_mask:0xf bank_mask:0xf// 000000009DD4: 0B2322FA FF015910
	v_mul_f32_dpp v146, v16, v146 row_newbcast:10 row_mask:0xf bank_mask:0xf// 000000009DDC: 0B2524FA FF015A10
	v_mul_f32_dpp v147, v16, v147 row_newbcast:11 row_mask:0xf bank_mask:0xf// 000000009DE4: 0B2726FA FF015B10
	v_mul_f32_e32 v148, v15, v148                              // 000000009DEC: 0B29290F
	v_mul_f32_e32 v149, v15, v149                              // 000000009DF0: 0B2B2B0F
	v_mul_f32_e32 v150, v15, v150                              // 000000009DF4: 0B2D2D0F
	v_mul_f32_e32 v151, v15, v151                              // 000000009DF8: 0B2F2F0F
	v_mul_f32_dpp v148, v16, v148 row_newbcast:8 row_mask:0xf bank_mask:0xf// 000000009DFC: 0B2928FA FF015810
	v_mul_f32_dpp v149, v16, v149 row_newbcast:9 row_mask:0xf bank_mask:0xf// 000000009E04: 0B2B2AFA FF015910
	v_mul_f32_dpp v150, v16, v150 row_newbcast:10 row_mask:0xf bank_mask:0xf// 000000009E0C: 0B2D2CFA FF015A10
	v_mul_f32_dpp v151, v16, v151 row_newbcast:11 row_mask:0xf bank_mask:0xf// 000000009E14: 0B2F2EFA FF015B10
	v_mul_f32_e32 v152, v14, v152                              // 000000009E1C: 0B31310E
	v_mul_f32_e32 v153, v14, v153                              // 000000009E20: 0B33330E
	v_mul_f32_e32 v154, v14, v154                              // 000000009E24: 0B35350E
	v_mul_f32_e32 v155, v14, v155                              // 000000009E28: 0B37370E
	v_mul_f32_dpp v152, v16, v152 row_newbcast:12 row_mask:0xf bank_mask:0xf// 000000009E2C: 0B3130FA FF015C10
	v_mul_f32_dpp v153, v16, v153 row_newbcast:13 row_mask:0xf bank_mask:0xf// 000000009E34: 0B3332FA FF015D10
	v_mul_f32_dpp v154, v16, v154 row_newbcast:14 row_mask:0xf bank_mask:0xf// 000000009E3C: 0B3534FA FF015E10
	v_mul_f32_dpp v155, v16, v155 row_newbcast:15 row_mask:0xf bank_mask:0xf// 000000009E44: 0B3736FA FF015F10
	v_mul_f32_e32 v156, v15, v156                              // 000000009E4C: 0B39390F
	v_mul_f32_e32 v157, v15, v157                              // 000000009E50: 0B3B3B0F
	v_mul_f32_e32 v158, v15, v158                              // 000000009E54: 0B3D3D0F
	v_mul_f32_e32 v159, v15, v159                              // 000000009E58: 0B3F3F0F
	v_mul_f32_dpp v156, v16, v156 row_newbcast:12 row_mask:0xf bank_mask:0xf// 000000009E5C: 0B3938FA FF015C10
	v_mul_f32_dpp v157, v16, v157 row_newbcast:13 row_mask:0xf bank_mask:0xf// 000000009E64: 0B3B3AFA FF015D10
	v_mul_f32_dpp v158, v16, v158 row_newbcast:14 row_mask:0xf bank_mask:0xf// 000000009E6C: 0B3D3CFA FF015E10
	v_mul_f32_dpp v159, v16, v159 row_newbcast:15 row_mask:0xf bank_mask:0xf// 000000009E74: 0B3F3EFA FF015F10
	v_mul_f32_e32 v160, v14, v160                              // 000000009E7C: 0B41410E
	v_mul_f32_e32 v161, v14, v161                              // 000000009E80: 0B43430E
	v_mul_f32_e32 v162, v14, v162                              // 000000009E84: 0B45450E
	v_mul_f32_e32 v163, v14, v163                              // 000000009E88: 0B47470E
	v_mul_f32_dpp v160, v17, v160 row_newbcast:0 row_mask:0xf bank_mask:0xf// 000000009E8C: 0B4140FA FF015011
	v_mul_f32_dpp v161, v17, v161 row_newbcast:1 row_mask:0xf bank_mask:0xf// 000000009E94: 0B4342FA FF015111
	v_mul_f32_dpp v162, v17, v162 row_newbcast:2 row_mask:0xf bank_mask:0xf// 000000009E9C: 0B4544FA FF015211
	v_mul_f32_dpp v163, v17, v163 row_newbcast:3 row_mask:0xf bank_mask:0xf// 000000009EA4: 0B4746FA FF015311
	v_mul_f32_e32 v164, v15, v164                              // 000000009EAC: 0B49490F
	v_mul_f32_e32 v165, v15, v165                              // 000000009EB0: 0B4B4B0F
	v_mul_f32_e32 v166, v15, v166                              // 000000009EB4: 0B4D4D0F
	v_mul_f32_e32 v167, v15, v167                              // 000000009EB8: 0B4F4F0F
	v_mul_f32_dpp v164, v17, v164 row_newbcast:0 row_mask:0xf bank_mask:0xf// 000000009EBC: 0B4948FA FF015011
	v_mul_f32_dpp v165, v17, v165 row_newbcast:1 row_mask:0xf bank_mask:0xf// 000000009EC4: 0B4B4AFA FF015111
	v_mul_f32_dpp v166, v17, v166 row_newbcast:2 row_mask:0xf bank_mask:0xf// 000000009ECC: 0B4D4CFA FF015211
	v_mul_f32_dpp v167, v17, v167 row_newbcast:3 row_mask:0xf bank_mask:0xf// 000000009ED4: 0B4F4EFA FF015311
	v_mul_f32_e32 v168, v14, v168                              // 000000009EDC: 0B51510E
	v_mul_f32_e32 v169, v14, v169                              // 000000009EE0: 0B53530E
	v_mul_f32_e32 v170, v14, v170                              // 000000009EE4: 0B55550E
	v_mul_f32_e32 v171, v14, v171                              // 000000009EE8: 0B57570E
	v_mul_f32_dpp v168, v17, v168 row_newbcast:4 row_mask:0xf bank_mask:0xf// 000000009EEC: 0B5150FA FF015411
	v_mul_f32_dpp v169, v17, v169 row_newbcast:5 row_mask:0xf bank_mask:0xf// 000000009EF4: 0B5352FA FF015511
	v_mul_f32_dpp v170, v17, v170 row_newbcast:6 row_mask:0xf bank_mask:0xf// 000000009EFC: 0B5554FA FF015611
	v_mul_f32_dpp v171, v17, v171 row_newbcast:7 row_mask:0xf bank_mask:0xf// 000000009F04: 0B5756FA FF015711
	v_mul_f32_e32 v172, v15, v172                              // 000000009F0C: 0B59590F
	v_mul_f32_e32 v173, v15, v173                              // 000000009F10: 0B5B5B0F
	v_mul_f32_e32 v174, v15, v174                              // 000000009F14: 0B5D5D0F
	v_mul_f32_e32 v175, v15, v175                              // 000000009F18: 0B5F5F0F
	v_mul_f32_dpp v172, v17, v172 row_newbcast:4 row_mask:0xf bank_mask:0xf// 000000009F1C: 0B5958FA FF015411
	v_mul_f32_dpp v173, v17, v173 row_newbcast:5 row_mask:0xf bank_mask:0xf// 000000009F24: 0B5B5AFA FF015511
	v_mul_f32_dpp v174, v17, v174 row_newbcast:6 row_mask:0xf bank_mask:0xf// 000000009F2C: 0B5D5CFA FF015611
	v_mul_f32_dpp v175, v17, v175 row_newbcast:7 row_mask:0xf bank_mask:0xf// 000000009F34: 0B5F5EFA FF015711
	v_mul_f32_e32 v176, v14, v176                              // 000000009F3C: 0B61610E
	v_mul_f32_e32 v177, v14, v177                              // 000000009F40: 0B63630E
	v_mul_f32_e32 v178, v14, v178                              // 000000009F44: 0B65650E
	v_mul_f32_e32 v179, v14, v179                              // 000000009F48: 0B67670E
	v_mul_f32_dpp v176, v17, v176 row_newbcast:8 row_mask:0xf bank_mask:0xf// 000000009F4C: 0B6160FA FF015811
	v_mul_f32_dpp v177, v17, v177 row_newbcast:9 row_mask:0xf bank_mask:0xf// 000000009F54: 0B6362FA FF015911
	v_mul_f32_dpp v178, v17, v178 row_newbcast:10 row_mask:0xf bank_mask:0xf// 000000009F5C: 0B6564FA FF015A11
	v_mul_f32_dpp v179, v17, v179 row_newbcast:11 row_mask:0xf bank_mask:0xf// 000000009F64: 0B6766FA FF015B11
	v_mul_f32_e32 v180, v15, v180                              // 000000009F6C: 0B69690F
	v_mul_f32_e32 v181, v15, v181                              // 000000009F70: 0B6B6B0F
	v_mul_f32_e32 v182, v15, v182                              // 000000009F74: 0B6D6D0F
	v_mul_f32_e32 v183, v15, v183                              // 000000009F78: 0B6F6F0F
	v_mul_f32_dpp v180, v17, v180 row_newbcast:8 row_mask:0xf bank_mask:0xf// 000000009F7C: 0B6968FA FF015811
	v_mul_f32_dpp v181, v17, v181 row_newbcast:9 row_mask:0xf bank_mask:0xf// 000000009F84: 0B6B6AFA FF015911
	v_mul_f32_dpp v182, v17, v182 row_newbcast:10 row_mask:0xf bank_mask:0xf// 000000009F8C: 0B6D6CFA FF015A11
	v_mul_f32_dpp v183, v17, v183 row_newbcast:11 row_mask:0xf bank_mask:0xf// 000000009F94: 0B6F6EFA FF015B11
	v_mul_f32_e32 v184, v14, v184                              // 000000009F9C: 0B71710E
	v_mul_f32_e32 v185, v14, v185                              // 000000009FA0: 0B73730E
	v_mul_f32_e32 v186, v14, v186                              // 000000009FA4: 0B75750E
	v_mul_f32_e32 v187, v14, v187                              // 000000009FA8: 0B77770E
	v_mul_f32_dpp v184, v17, v184 row_newbcast:12 row_mask:0xf bank_mask:0xf// 000000009FAC: 0B7170FA FF015C11
	v_mul_f32_dpp v185, v17, v185 row_newbcast:13 row_mask:0xf bank_mask:0xf// 000000009FB4: 0B7372FA FF015D11
	v_mul_f32_dpp v186, v17, v186 row_newbcast:14 row_mask:0xf bank_mask:0xf// 000000009FBC: 0B7574FA FF015E11
	v_mul_f32_dpp v187, v17, v187 row_newbcast:15 row_mask:0xf bank_mask:0xf// 000000009FC4: 0B7776FA FF015F11
	v_mul_f32_e32 v188, v15, v188                              // 000000009FCC: 0B79790F
	v_mul_f32_e32 v189, v15, v189                              // 000000009FD0: 0B7B7B0F
	v_mul_f32_e32 v190, v15, v190                              // 000000009FD4: 0B7D7D0F
	v_mul_f32_e32 v191, v15, v191                              // 000000009FD8: 0B7F7F0F
	v_mul_f32_dpp v188, v17, v188 row_newbcast:12 row_mask:0xf bank_mask:0xf// 000000009FDC: 0B7978FA FF015C11
	v_mul_f32_dpp v189, v17, v189 row_newbcast:13 row_mask:0xf bank_mask:0xf// 000000009FE4: 0B7B7AFA FF015D11
	v_mul_f32_dpp v190, v17, v190 row_newbcast:14 row_mask:0xf bank_mask:0xf// 000000009FEC: 0B7D7CFA FF015E11
	v_mul_f32_dpp v191, v17, v191 row_newbcast:15 row_mask:0xf bank_mask:0xf// 000000009FF4: 0B7F7EFA FF015F11
	v_mul_f32_e32 v64, v14, v64                                // 000000009FFC: 0A80810E
	v_mul_f32_e32 v65, v14, v65                                // 00000000A000: 0A82830E
	v_mul_f32_e32 v66, v14, v66                                // 00000000A004: 0A84850E
	v_mul_f32_e32 v67, v14, v67                                // 00000000A008: 0A86870E
	v_mul_f32_dpp v64, v50, v64 row_newbcast:0 row_mask:0xf bank_mask:0xf// 00000000A00C: 0A8080FA FF015032
	v_mul_f32_dpp v65, v50, v65 row_newbcast:1 row_mask:0xf bank_mask:0xf// 00000000A014: 0A8282FA FF015132
	v_mul_f32_dpp v66, v50, v66 row_newbcast:2 row_mask:0xf bank_mask:0xf// 00000000A01C: 0A8484FA FF015232
	v_mul_f32_dpp v67, v50, v67 row_newbcast:3 row_mask:0xf bank_mask:0xf// 00000000A024: 0A8686FA FF015332
	v_mul_f32_e32 v68, v15, v68                                // 00000000A02C: 0A88890F
	v_mul_f32_e32 v69, v15, v69                                // 00000000A030: 0A8A8B0F
	v_mul_f32_e32 v70, v15, v70                                // 00000000A034: 0A8C8D0F
	v_mul_f32_e32 v71, v15, v71                                // 00000000A038: 0A8E8F0F
	v_mul_f32_dpp v68, v50, v68 row_newbcast:0 row_mask:0xf bank_mask:0xf// 00000000A03C: 0A8888FA FF015032
	v_mul_f32_dpp v69, v50, v69 row_newbcast:1 row_mask:0xf bank_mask:0xf// 00000000A044: 0A8A8AFA FF015132
	v_mul_f32_dpp v70, v50, v70 row_newbcast:2 row_mask:0xf bank_mask:0xf// 00000000A04C: 0A8C8CFA FF015232
	v_mul_f32_dpp v71, v50, v71 row_newbcast:3 row_mask:0xf bank_mask:0xf// 00000000A054: 0A8E8EFA FF015332
	v_mul_f32_e32 v72, v14, v72                                // 00000000A05C: 0A90910E
	v_mul_f32_e32 v73, v14, v73                                // 00000000A060: 0A92930E
	v_mul_f32_e32 v74, v14, v74                                // 00000000A064: 0A94950E
	v_mul_f32_e32 v75, v14, v75                                // 00000000A068: 0A96970E
	v_mul_f32_dpp v72, v50, v72 row_newbcast:4 row_mask:0xf bank_mask:0xf// 00000000A06C: 0A9090FA FF015432
	v_mul_f32_dpp v73, v50, v73 row_newbcast:5 row_mask:0xf bank_mask:0xf// 00000000A074: 0A9292FA FF015532
	v_mul_f32_dpp v74, v50, v74 row_newbcast:6 row_mask:0xf bank_mask:0xf// 00000000A07C: 0A9494FA FF015632
	v_mul_f32_dpp v75, v50, v75 row_newbcast:7 row_mask:0xf bank_mask:0xf// 00000000A084: 0A9696FA FF015732
	v_mul_f32_e32 v76, v15, v76                                // 00000000A08C: 0A98990F
	v_mul_f32_e32 v77, v15, v77                                // 00000000A090: 0A9A9B0F
	v_mul_f32_e32 v78, v15, v78                                // 00000000A094: 0A9C9D0F
	v_mul_f32_e32 v79, v15, v79                                // 00000000A098: 0A9E9F0F
	v_mul_f32_dpp v76, v50, v76 row_newbcast:4 row_mask:0xf bank_mask:0xf// 00000000A09C: 0A9898FA FF015432
	v_mul_f32_dpp v77, v50, v77 row_newbcast:5 row_mask:0xf bank_mask:0xf// 00000000A0A4: 0A9A9AFA FF015532
	v_mul_f32_dpp v78, v50, v78 row_newbcast:6 row_mask:0xf bank_mask:0xf// 00000000A0AC: 0A9C9CFA FF015632
	v_mul_f32_dpp v79, v50, v79 row_newbcast:7 row_mask:0xf bank_mask:0xf// 00000000A0B4: 0A9E9EFA FF015732
	v_mul_f32_e32 v80, v14, v80                                // 00000000A0BC: 0AA0A10E
	v_mul_f32_e32 v81, v14, v81                                // 00000000A0C0: 0AA2A30E
	v_mul_f32_e32 v82, v14, v82                                // 00000000A0C4: 0AA4A50E
	v_mul_f32_e32 v83, v14, v83                                // 00000000A0C8: 0AA6A70E
	v_mul_f32_dpp v80, v50, v80 row_newbcast:8 row_mask:0xf bank_mask:0xf// 00000000A0CC: 0AA0A0FA FF015832
	v_mul_f32_dpp v81, v50, v81 row_newbcast:9 row_mask:0xf bank_mask:0xf// 00000000A0D4: 0AA2A2FA FF015932
	v_mul_f32_dpp v82, v50, v82 row_newbcast:10 row_mask:0xf bank_mask:0xf// 00000000A0DC: 0AA4A4FA FF015A32
	v_mul_f32_dpp v83, v50, v83 row_newbcast:11 row_mask:0xf bank_mask:0xf// 00000000A0E4: 0AA6A6FA FF015B32
	v_mul_f32_e32 v84, v15, v84                                // 00000000A0EC: 0AA8A90F
	v_mul_f32_e32 v85, v15, v85                                // 00000000A0F0: 0AAAAB0F
	v_mul_f32_e32 v86, v15, v86                                // 00000000A0F4: 0AACAD0F
	v_mul_f32_e32 v87, v15, v87                                // 00000000A0F8: 0AAEAF0F
	v_mul_f32_dpp v84, v50, v84 row_newbcast:8 row_mask:0xf bank_mask:0xf// 00000000A0FC: 0AA8A8FA FF015832
	v_mul_f32_dpp v85, v50, v85 row_newbcast:9 row_mask:0xf bank_mask:0xf// 00000000A104: 0AAAAAFA FF015932
	v_mul_f32_dpp v86, v50, v86 row_newbcast:10 row_mask:0xf bank_mask:0xf// 00000000A10C: 0AACACFA FF015A32
	v_mul_f32_dpp v87, v50, v87 row_newbcast:11 row_mask:0xf bank_mask:0xf// 00000000A114: 0AAEAEFA FF015B32
	v_mul_f32_e32 v88, v14, v88                                // 00000000A11C: 0AB0B10E
	v_mul_f32_e32 v89, v14, v89                                // 00000000A120: 0AB2B30E
	v_mul_f32_e32 v90, v14, v90                                // 00000000A124: 0AB4B50E
	v_mul_f32_e32 v91, v14, v91                                // 00000000A128: 0AB6B70E
	v_mul_f32_dpp v88, v50, v88 row_newbcast:12 row_mask:0xf bank_mask:0xf// 00000000A12C: 0AB0B0FA FF015C32
	v_mul_f32_dpp v89, v50, v89 row_newbcast:13 row_mask:0xf bank_mask:0xf// 00000000A134: 0AB2B2FA FF015D32
	v_mul_f32_dpp v90, v50, v90 row_newbcast:14 row_mask:0xf bank_mask:0xf// 00000000A13C: 0AB4B4FA FF015E32
	v_mul_f32_dpp v91, v50, v91 row_newbcast:15 row_mask:0xf bank_mask:0xf// 00000000A144: 0AB6B6FA FF015F32
	v_mul_f32_e32 v92, v15, v92                                // 00000000A14C: 0AB8B90F
	v_mul_f32_e32 v93, v15, v93                                // 00000000A150: 0ABABB0F
	v_mul_f32_e32 v94, v15, v94                                // 00000000A154: 0ABCBD0F
	v_mul_f32_e32 v95, v15, v95                                // 00000000A158: 0ABEBF0F
	v_mul_f32_dpp v92, v50, v92 row_newbcast:12 row_mask:0xf bank_mask:0xf// 00000000A15C: 0AB8B8FA FF015C32
	v_mul_f32_dpp v93, v50, v93 row_newbcast:13 row_mask:0xf bank_mask:0xf// 00000000A164: 0ABABAFA FF015D32
	v_mul_f32_dpp v94, v50, v94 row_newbcast:14 row_mask:0xf bank_mask:0xf// 00000000A16C: 0ABCBCFA FF015E32
	v_mul_f32_dpp v95, v50, v95 row_newbcast:15 row_mask:0xf bank_mask:0xf// 00000000A174: 0ABEBEFA FF015F32
	v_mul_f32_e32 v96, v14, v96                                // 00000000A17C: 0AC0C10E
	v_mul_f32_e32 v97, v14, v97                                // 00000000A180: 0AC2C30E
	v_mul_f32_e32 v98, v14, v98                                // 00000000A184: 0AC4C50E
	v_mul_f32_e32 v99, v14, v99                                // 00000000A188: 0AC6C70E
	v_mul_f32_dpp v96, v51, v96 row_newbcast:0 row_mask:0xf bank_mask:0xf// 00000000A18C: 0AC0C0FA FF015033
	v_mul_f32_dpp v97, v51, v97 row_newbcast:1 row_mask:0xf bank_mask:0xf// 00000000A194: 0AC2C2FA FF015133
	v_mul_f32_dpp v98, v51, v98 row_newbcast:2 row_mask:0xf bank_mask:0xf// 00000000A19C: 0AC4C4FA FF015233
	v_mul_f32_dpp v99, v51, v99 row_newbcast:3 row_mask:0xf bank_mask:0xf// 00000000A1A4: 0AC6C6FA FF015333
	v_mul_f32_e32 v100, v15, v100                              // 00000000A1AC: 0AC8C90F
	v_mul_f32_e32 v101, v15, v101                              // 00000000A1B0: 0ACACB0F
	v_mul_f32_e32 v102, v15, v102                              // 00000000A1B4: 0ACCCD0F
	v_mul_f32_e32 v103, v15, v103                              // 00000000A1B8: 0ACECF0F
	v_mul_f32_dpp v100, v51, v100 row_newbcast:0 row_mask:0xf bank_mask:0xf// 00000000A1BC: 0AC8C8FA FF015033
	v_mul_f32_dpp v101, v51, v101 row_newbcast:1 row_mask:0xf bank_mask:0xf// 00000000A1C4: 0ACACAFA FF015133
	v_mul_f32_dpp v102, v51, v102 row_newbcast:2 row_mask:0xf bank_mask:0xf// 00000000A1CC: 0ACCCCFA FF015233
	v_mul_f32_dpp v103, v51, v103 row_newbcast:3 row_mask:0xf bank_mask:0xf// 00000000A1D4: 0ACECEFA FF015333
	v_mul_f32_e32 v104, v14, v104                              // 00000000A1DC: 0AD0D10E
	v_mul_f32_e32 v105, v14, v105                              // 00000000A1E0: 0AD2D30E
	v_mul_f32_e32 v106, v14, v106                              // 00000000A1E4: 0AD4D50E
	v_mul_f32_e32 v107, v14, v107                              // 00000000A1E8: 0AD6D70E
	v_mul_f32_dpp v104, v51, v104 row_newbcast:4 row_mask:0xf bank_mask:0xf// 00000000A1EC: 0AD0D0FA FF015433
	v_mul_f32_dpp v105, v51, v105 row_newbcast:5 row_mask:0xf bank_mask:0xf// 00000000A1F4: 0AD2D2FA FF015533
	v_mul_f32_dpp v106, v51, v106 row_newbcast:6 row_mask:0xf bank_mask:0xf// 00000000A1FC: 0AD4D4FA FF015633
	v_mul_f32_dpp v107, v51, v107 row_newbcast:7 row_mask:0xf bank_mask:0xf// 00000000A204: 0AD6D6FA FF015733
	v_mul_f32_e32 v108, v15, v108                              // 00000000A20C: 0AD8D90F
	v_mul_f32_e32 v109, v15, v109                              // 00000000A210: 0ADADB0F
	v_mul_f32_e32 v110, v15, v110                              // 00000000A214: 0ADCDD0F
	v_mul_f32_e32 v111, v15, v111                              // 00000000A218: 0ADEDF0F
	v_mul_f32_dpp v108, v51, v108 row_newbcast:4 row_mask:0xf bank_mask:0xf// 00000000A21C: 0AD8D8FA FF015433
	v_mul_f32_dpp v109, v51, v109 row_newbcast:5 row_mask:0xf bank_mask:0xf// 00000000A224: 0ADADAFA FF015533
	v_mul_f32_dpp v110, v51, v110 row_newbcast:6 row_mask:0xf bank_mask:0xf// 00000000A22C: 0ADCDCFA FF015633
	v_mul_f32_dpp v111, v51, v111 row_newbcast:7 row_mask:0xf bank_mask:0xf// 00000000A234: 0ADEDEFA FF015733
	v_mul_f32_e32 v112, v14, v112                              // 00000000A23C: 0AE0E10E
	v_mul_f32_e32 v113, v14, v113                              // 00000000A240: 0AE2E30E
	v_mul_f32_e32 v114, v14, v114                              // 00000000A244: 0AE4E50E
	v_mul_f32_e32 v115, v14, v115                              // 00000000A248: 0AE6E70E
	v_mul_f32_dpp v112, v51, v112 row_newbcast:8 row_mask:0xf bank_mask:0xf// 00000000A24C: 0AE0E0FA FF015833
	v_mul_f32_dpp v113, v51, v113 row_newbcast:9 row_mask:0xf bank_mask:0xf// 00000000A254: 0AE2E2FA FF015933
	v_mul_f32_dpp v114, v51, v114 row_newbcast:10 row_mask:0xf bank_mask:0xf// 00000000A25C: 0AE4E4FA FF015A33
	v_mul_f32_dpp v115, v51, v115 row_newbcast:11 row_mask:0xf bank_mask:0xf// 00000000A264: 0AE6E6FA FF015B33
	v_mul_f32_e32 v116, v15, v116                              // 00000000A26C: 0AE8E90F
	v_mul_f32_e32 v117, v15, v117                              // 00000000A270: 0AEAEB0F
	v_mul_f32_e32 v118, v15, v118                              // 00000000A274: 0AECED0F
	v_mul_f32_e32 v119, v15, v119                              // 00000000A278: 0AEEEF0F
	v_mul_f32_dpp v116, v51, v116 row_newbcast:8 row_mask:0xf bank_mask:0xf// 00000000A27C: 0AE8E8FA FF015833
	v_mul_f32_dpp v117, v51, v117 row_newbcast:9 row_mask:0xf bank_mask:0xf// 00000000A284: 0AEAEAFA FF015933
	v_mul_f32_dpp v118, v51, v118 row_newbcast:10 row_mask:0xf bank_mask:0xf// 00000000A28C: 0AECECFA FF015A33
	v_mul_f32_dpp v119, v51, v119 row_newbcast:11 row_mask:0xf bank_mask:0xf// 00000000A294: 0AEEEEFA FF015B33
	v_mul_f32_e32 v120, v14, v120                              // 00000000A29C: 0AF0F10E
	v_mul_f32_e32 v121, v14, v121                              // 00000000A2A0: 0AF2F30E
	v_mul_f32_e32 v122, v14, v122                              // 00000000A2A4: 0AF4F50E
	v_mul_f32_e32 v123, v14, v123                              // 00000000A2A8: 0AF6F70E
	v_mul_f32_dpp v120, v51, v120 row_newbcast:12 row_mask:0xf bank_mask:0xf// 00000000A2AC: 0AF0F0FA FF015C33
	v_mul_f32_dpp v121, v51, v121 row_newbcast:13 row_mask:0xf bank_mask:0xf// 00000000A2B4: 0AF2F2FA FF015D33
	v_mul_f32_dpp v122, v51, v122 row_newbcast:14 row_mask:0xf bank_mask:0xf// 00000000A2BC: 0AF4F4FA FF015E33
	v_mul_f32_dpp v123, v51, v123 row_newbcast:15 row_mask:0xf bank_mask:0xf// 00000000A2C4: 0AF6F6FA FF015F33
	v_mul_f32_e32 v124, v15, v124                              // 00000000A2CC: 0AF8F90F
	v_mul_f32_e32 v125, v15, v125                              // 00000000A2D0: 0AFAFB0F
	v_mul_f32_e32 v126, v15, v126                              // 00000000A2D4: 0AFCFD0F
	v_mul_f32_e32 v127, v15, v127                              // 00000000A2D8: 0AFEFF0F
	v_mul_f32_dpp v124, v51, v124 row_newbcast:12 row_mask:0xf bank_mask:0xf// 00000000A2DC: 0AF8F8FA FF015C33
	v_mul_f32_dpp v125, v51, v125 row_newbcast:13 row_mask:0xf bank_mask:0xf// 00000000A2E4: 0AFAFAFA FF015D33
	v_mul_f32_dpp v126, v51, v126 row_newbcast:14 row_mask:0xf bank_mask:0xf// 00000000A2EC: 0AFCFCFA FF015E33
	v_mul_f32_dpp v127, v51, v127 row_newbcast:15 row_mask:0xf bank_mask:0xf// 00000000A2F4: 0AFEFEFA FF015F33
	s_waitcnt vmcnt(28)                                        // 00000000A2FC: BF8C4F7C
	buffer_load_dwordx4 a[0:3], v42, s[12:15], 0 offen         // 00000000A300: E05C1000 8083002A
	v_mul_f32_e32 v52, v128, v128                              // 00000000A308: 0A690180
	v_mul_f32_e32 v53, v129, v129                              // 00000000A30C: 0A6B0381
	v_mul_f32_e32 v54, v130, v130                              // 00000000A310: 0A6D0582
	v_mul_f32_e32 v55, v131, v131                              // 00000000A314: 0A6F0783
	v_fma_f32 v52, v52, s77, v1                                // 00000000A318: D1CB0034 04049B34
	v_fma_f32 v53, v53, s77, v1                                // 00000000A320: D1CB0035 04049B35
	v_fma_f32 v54, v54, s77, v1                                // 00000000A328: D1CB0036 04049B36
	v_fma_f32 v55, v55, s77, v1                                // 00000000A330: D1CB0037 04049B37
	v_mul_f32_e32 v52, v52, v128                               // 00000000A338: 0A690134
	v_mul_f32_e32 v53, v53, v129                               // 00000000A33C: 0A6B0335
	v_mul_f32_e32 v54, v54, v130                               // 00000000A340: 0A6D0536
	v_mul_f32_e32 v55, v55, v131                               // 00000000A344: 0A6F0737
	v_mul_f32_e64 v52, v52, s6                                 // 00000000A348: D1050034 00000D34
	v_mul_f32_e64 v53, v53, s6                                 // 00000000A350: D1050035 00000D35
	v_mul_f32_e64 v54, v54, s6                                 // 00000000A358: D1050036 00000D36
	v_mul_f32_e64 v55, v55, s6                                 // 00000000A360: D1050037 00000D37
	v_exp_f32_e32 v52, v52                                     // 00000000A368: 7E684134
	v_exp_f32_e32 v53, v53                                     // 00000000A36C: 7E6A4135
	v_exp_f32_e32 v54, v54                                     // 00000000A370: 7E6C4136
	v_exp_f32_e32 v55, v55                                     // 00000000A374: 7E6E4137
	buffer_load_dwordx4 a[4:7], v43, s[12:15], 0 offen         // 00000000A378: E05C1000 8083042B
	v_add_f32_e64 v52, v52, 1.0                                // 00000000A380: D1010034 0001E534
	v_add_f32_e64 v53, v53, 1.0                                // 00000000A388: D1010035 0001E535
	v_add_f32_e64 v54, v54, 1.0                                // 00000000A390: D1010036 0001E536
	v_add_f32_e64 v55, v55, 1.0                                // 00000000A398: D1010037 0001E537
	v_rcp_f32_e32 v52, v52                                     // 00000000A3A0: 7E684534
	v_rcp_f32_e32 v53, v53                                     // 00000000A3A4: 7E6A4535
	v_rcp_f32_e32 v54, v54                                     // 00000000A3A8: 7E6C4536
	v_rcp_f32_e32 v55, v55                                     // 00000000A3AC: 7E6E4537
	v_mul_f32_e32 v128, v128, v52                              // 00000000A3B0: 0B006980
	v_mul_f32_e32 v129, v129, v53                              // 00000000A3B4: 0B026B81
	v_mul_f32_e32 v130, v130, v54                              // 00000000A3B8: 0B046D82
	v_mul_f32_e32 v131, v131, v55                              // 00000000A3BC: 0B066F83
	v_mul_f32_e32 v128, v128, v64                              // 00000000A3C0: 0B008180
	v_mul_f32_e32 v129, v129, v65                              // 00000000A3C4: 0B028381
	v_mul_f32_e32 v130, v130, v66                              // 00000000A3C8: 0B048582
	v_mul_f32_e32 v131, v131, v67                              // 00000000A3CC: 0B068783
	buffer_load_dwordx4 a[8:11], v44, s[12:15], 0 offen        // 00000000A3D0: E05C1000 8083082C
	v_mul_f32_e32 v52, v132, v132                              // 00000000A3D8: 0A690984
	v_mul_f32_e32 v53, v133, v133                              // 00000000A3DC: 0A6B0B85
	v_mul_f32_e32 v54, v134, v134                              // 00000000A3E0: 0A6D0D86
	v_mul_f32_e32 v55, v135, v135                              // 00000000A3E4: 0A6F0F87
	v_fma_f32 v52, v52, s77, v1                                // 00000000A3E8: D1CB0034 04049B34
	v_fma_f32 v53, v53, s77, v1                                // 00000000A3F0: D1CB0035 04049B35
	v_fma_f32 v54, v54, s77, v1                                // 00000000A3F8: D1CB0036 04049B36
	v_fma_f32 v55, v55, s77, v1                                // 00000000A400: D1CB0037 04049B37
	v_mul_f32_e32 v52, v52, v132                               // 00000000A408: 0A690934
	v_mul_f32_e32 v53, v53, v133                               // 00000000A40C: 0A6B0B35
	v_mul_f32_e32 v54, v54, v134                               // 00000000A410: 0A6D0D36
	v_mul_f32_e32 v55, v55, v135                               // 00000000A414: 0A6F0F37
	v_mul_f32_e64 v52, v52, s6                                 // 00000000A418: D1050034 00000D34
	v_mul_f32_e64 v53, v53, s6                                 // 00000000A420: D1050035 00000D35
	v_mul_f32_e64 v54, v54, s6                                 // 00000000A428: D1050036 00000D36
	v_mul_f32_e64 v55, v55, s6                                 // 00000000A430: D1050037 00000D37
	v_exp_f32_e32 v52, v52                                     // 00000000A438: 7E684134
	v_exp_f32_e32 v53, v53                                     // 00000000A43C: 7E6A4135
	v_exp_f32_e32 v54, v54                                     // 00000000A440: 7E6C4136
	v_exp_f32_e32 v55, v55                                     // 00000000A444: 7E6E4137
	buffer_load_dwordx4 a[12:15], v45, s[12:15], 0 offen       // 00000000A448: E05C1000 80830C2D
	s_add_u32 s12, s78, s12                                    // 00000000A450: 800C0C4E
	s_addc_u32 s13, 0, s13                                     // 00000000A454: 820D0D80
	v_add_f32_e64 v52, v52, 1.0                                // 00000000A458: D1010034 0001E534
	v_add_f32_e64 v53, v53, 1.0                                // 00000000A460: D1010035 0001E535
	v_add_f32_e64 v54, v54, 1.0                                // 00000000A468: D1010036 0001E536
	v_add_f32_e64 v55, v55, 1.0                                // 00000000A470: D1010037 0001E537
	v_rcp_f32_e32 v52, v52                                     // 00000000A478: 7E684534
	v_rcp_f32_e32 v53, v53                                     // 00000000A47C: 7E6A4535
	v_rcp_f32_e32 v54, v54                                     // 00000000A480: 7E6C4536
	v_rcp_f32_e32 v55, v55                                     // 00000000A484: 7E6E4537
	v_mul_f32_e32 v132, v132, v52                              // 00000000A488: 0B086984
	v_mul_f32_e32 v133, v133, v53                              // 00000000A48C: 0B0A6B85
	v_mul_f32_e32 v134, v134, v54                              // 00000000A490: 0B0C6D86
	v_mul_f32_e32 v135, v135, v55                              // 00000000A494: 0B0E6F87
	v_mul_f32_e32 v132, v132, v68                              // 00000000A498: 0B088984
	v_mul_f32_e32 v133, v133, v69                              // 00000000A49C: 0B0A8B85
	v_mul_f32_e32 v134, v134, v70                              // 00000000A4A0: 0B0C8D86
	v_mul_f32_e32 v135, v135, v71                              // 00000000A4A4: 0B0E8F87
	s_waitcnt vmcnt(28)                                        // 00000000A4A8: BF8C4F7C
	buffer_load_dwordx4 a[16:19], v42, s[12:15], 0 offen       // 00000000A4AC: E05C1000 8083102A
	v_mul_f32_e32 v52, v136, v136                              // 00000000A4B4: 0A691188
	v_mul_f32_e32 v53, v137, v137                              // 00000000A4B8: 0A6B1389
	v_mul_f32_e32 v54, v138, v138                              // 00000000A4BC: 0A6D158A
	v_mul_f32_e32 v55, v139, v139                              // 00000000A4C0: 0A6F178B
	v_fma_f32 v52, v52, s77, v1                                // 00000000A4C4: D1CB0034 04049B34
	v_fma_f32 v53, v53, s77, v1                                // 00000000A4CC: D1CB0035 04049B35
	v_fma_f32 v54, v54, s77, v1                                // 00000000A4D4: D1CB0036 04049B36
	v_fma_f32 v55, v55, s77, v1                                // 00000000A4DC: D1CB0037 04049B37
	v_mul_f32_e32 v52, v52, v136                               // 00000000A4E4: 0A691134
	v_mul_f32_e32 v53, v53, v137                               // 00000000A4E8: 0A6B1335
	v_mul_f32_e32 v54, v54, v138                               // 00000000A4EC: 0A6D1536
	v_mul_f32_e32 v55, v55, v139                               // 00000000A4F0: 0A6F1737
	v_mul_f32_e64 v52, v52, s6                                 // 00000000A4F4: D1050034 00000D34
	v_mul_f32_e64 v53, v53, s6                                 // 00000000A4FC: D1050035 00000D35
	v_mul_f32_e64 v54, v54, s6                                 // 00000000A504: D1050036 00000D36
	v_mul_f32_e64 v55, v55, s6                                 // 00000000A50C: D1050037 00000D37
	v_exp_f32_e32 v52, v52                                     // 00000000A514: 7E684134
	v_exp_f32_e32 v53, v53                                     // 00000000A518: 7E6A4135
	v_exp_f32_e32 v54, v54                                     // 00000000A51C: 7E6C4136
	v_exp_f32_e32 v55, v55                                     // 00000000A520: 7E6E4137
	buffer_load_dwordx4 a[20:23], v43, s[12:15], 0 offen       // 00000000A524: E05C1000 8083142B
	v_add_f32_e64 v52, v52, 1.0                                // 00000000A52C: D1010034 0001E534
	v_add_f32_e64 v53, v53, 1.0                                // 00000000A534: D1010035 0001E535
	v_add_f32_e64 v54, v54, 1.0                                // 00000000A53C: D1010036 0001E536
	v_add_f32_e64 v55, v55, 1.0                                // 00000000A544: D1010037 0001E537
	v_rcp_f32_e32 v52, v52                                     // 00000000A54C: 7E684534
	v_rcp_f32_e32 v53, v53                                     // 00000000A550: 7E6A4535
	v_rcp_f32_e32 v54, v54                                     // 00000000A554: 7E6C4536
	v_rcp_f32_e32 v55, v55                                     // 00000000A558: 7E6E4537
	v_mul_f32_e32 v136, v136, v52                              // 00000000A55C: 0B106988
	v_mul_f32_e32 v137, v137, v53                              // 00000000A560: 0B126B89
	v_mul_f32_e32 v138, v138, v54                              // 00000000A564: 0B146D8A
	v_mul_f32_e32 v139, v139, v55                              // 00000000A568: 0B166F8B
	v_mul_f32_e32 v136, v136, v72                              // 00000000A56C: 0B109188
	v_mul_f32_e32 v137, v137, v73                              // 00000000A570: 0B129389
	v_mul_f32_e32 v138, v138, v74                              // 00000000A574: 0B14958A
	v_mul_f32_e32 v139, v139, v75                              // 00000000A578: 0B16978B
	buffer_load_dwordx4 a[24:27], v44, s[12:15], 0 offen       // 00000000A57C: E05C1000 8083182C
	v_mul_f32_e32 v52, v140, v140                              // 00000000A584: 0A69198C
	v_mul_f32_e32 v53, v141, v141                              // 00000000A588: 0A6B1B8D
	v_mul_f32_e32 v54, v142, v142                              // 00000000A58C: 0A6D1D8E
	v_mul_f32_e32 v55, v143, v143                              // 00000000A590: 0A6F1F8F
	v_fma_f32 v52, v52, s77, v1                                // 00000000A594: D1CB0034 04049B34
	v_fma_f32 v53, v53, s77, v1                                // 00000000A59C: D1CB0035 04049B35
	v_fma_f32 v54, v54, s77, v1                                // 00000000A5A4: D1CB0036 04049B36
	v_fma_f32 v55, v55, s77, v1                                // 00000000A5AC: D1CB0037 04049B37
	v_mul_f32_e32 v52, v52, v140                               // 00000000A5B4: 0A691934
	v_mul_f32_e32 v53, v53, v141                               // 00000000A5B8: 0A6B1B35
	v_mul_f32_e32 v54, v54, v142                               // 00000000A5BC: 0A6D1D36
	v_mul_f32_e32 v55, v55, v143                               // 00000000A5C0: 0A6F1F37
	v_mul_f32_e64 v52, v52, s6                                 // 00000000A5C4: D1050034 00000D34
	v_mul_f32_e64 v53, v53, s6                                 // 00000000A5CC: D1050035 00000D35
	v_mul_f32_e64 v54, v54, s6                                 // 00000000A5D4: D1050036 00000D36
	v_mul_f32_e64 v55, v55, s6                                 // 00000000A5DC: D1050037 00000D37
	v_exp_f32_e32 v52, v52                                     // 00000000A5E4: 7E684134
	v_exp_f32_e32 v53, v53                                     // 00000000A5E8: 7E6A4135
	v_exp_f32_e32 v54, v54                                     // 00000000A5EC: 7E6C4136
	v_exp_f32_e32 v55, v55                                     // 00000000A5F0: 7E6E4137
	buffer_load_dwordx4 a[28:31], v45, s[12:15], 0 offen       // 00000000A5F4: E05C1000 80831C2D
	s_add_u32 s12, s78, s12                                    // 00000000A5FC: 800C0C4E
	s_addc_u32 s13, 0, s13                                     // 00000000A600: 820D0D80
	v_add_f32_e64 v52, v52, 1.0                                // 00000000A604: D1010034 0001E534
	v_add_f32_e64 v53, v53, 1.0                                // 00000000A60C: D1010035 0001E535
	v_add_f32_e64 v54, v54, 1.0                                // 00000000A614: D1010036 0001E536
	v_add_f32_e64 v55, v55, 1.0                                // 00000000A61C: D1010037 0001E537
	v_rcp_f32_e32 v52, v52                                     // 00000000A624: 7E684534
	v_rcp_f32_e32 v53, v53                                     // 00000000A628: 7E6A4535
	v_rcp_f32_e32 v54, v54                                     // 00000000A62C: 7E6C4536
	v_rcp_f32_e32 v55, v55                                     // 00000000A630: 7E6E4537
	v_mul_f32_e32 v140, v140, v52                              // 00000000A634: 0B18698C
	v_mul_f32_e32 v141, v141, v53                              // 00000000A638: 0B1A6B8D
	v_mul_f32_e32 v142, v142, v54                              // 00000000A63C: 0B1C6D8E
	v_mul_f32_e32 v143, v143, v55                              // 00000000A640: 0B1E6F8F
	v_mul_f32_e32 v140, v140, v76                              // 00000000A644: 0B18998C
	v_mul_f32_e32 v141, v141, v77                              // 00000000A648: 0B1A9B8D
	v_mul_f32_e32 v142, v142, v78                              // 00000000A64C: 0B1C9D8E
	v_mul_f32_e32 v143, v143, v79                              // 00000000A650: 0B1E9F8F
	s_waitcnt vmcnt(28)                                        // 00000000A654: BF8C4F7C
	buffer_load_dwordx4 a[32:35], v42, s[12:15], 0 offen       // 00000000A658: E05C1000 8083202A
	v_mul_f32_e32 v52, v144, v144                              // 00000000A660: 0A692190
	v_mul_f32_e32 v53, v145, v145                              // 00000000A664: 0A6B2391
	v_mul_f32_e32 v54, v146, v146                              // 00000000A668: 0A6D2592
	v_mul_f32_e32 v55, v147, v147                              // 00000000A66C: 0A6F2793
	v_fma_f32 v52, v52, s77, v1                                // 00000000A670: D1CB0034 04049B34
	v_fma_f32 v53, v53, s77, v1                                // 00000000A678: D1CB0035 04049B35
	v_fma_f32 v54, v54, s77, v1                                // 00000000A680: D1CB0036 04049B36
	v_fma_f32 v55, v55, s77, v1                                // 00000000A688: D1CB0037 04049B37
	v_mul_f32_e32 v52, v52, v144                               // 00000000A690: 0A692134
	v_mul_f32_e32 v53, v53, v145                               // 00000000A694: 0A6B2335
	v_mul_f32_e32 v54, v54, v146                               // 00000000A698: 0A6D2536
	v_mul_f32_e32 v55, v55, v147                               // 00000000A69C: 0A6F2737
	v_mul_f32_e64 v52, v52, s6                                 // 00000000A6A0: D1050034 00000D34
	v_mul_f32_e64 v53, v53, s6                                 // 00000000A6A8: D1050035 00000D35
	v_mul_f32_e64 v54, v54, s6                                 // 00000000A6B0: D1050036 00000D36
	v_mul_f32_e64 v55, v55, s6                                 // 00000000A6B8: D1050037 00000D37
	v_exp_f32_e32 v52, v52                                     // 00000000A6C0: 7E684134
	v_exp_f32_e32 v53, v53                                     // 00000000A6C4: 7E6A4135
	v_exp_f32_e32 v54, v54                                     // 00000000A6C8: 7E6C4136
	v_exp_f32_e32 v55, v55                                     // 00000000A6CC: 7E6E4137
	buffer_load_dwordx4 a[36:39], v43, s[12:15], 0 offen       // 00000000A6D0: E05C1000 8083242B
	v_add_f32_e64 v52, v52, 1.0                                // 00000000A6D8: D1010034 0001E534
	v_add_f32_e64 v53, v53, 1.0                                // 00000000A6E0: D1010035 0001E535
	v_add_f32_e64 v54, v54, 1.0                                // 00000000A6E8: D1010036 0001E536
	v_add_f32_e64 v55, v55, 1.0                                // 00000000A6F0: D1010037 0001E537
	v_rcp_f32_e32 v52, v52                                     // 00000000A6F8: 7E684534
	v_rcp_f32_e32 v53, v53                                     // 00000000A6FC: 7E6A4535
	v_rcp_f32_e32 v54, v54                                     // 00000000A700: 7E6C4536
	v_rcp_f32_e32 v55, v55                                     // 00000000A704: 7E6E4537
	v_mul_f32_e32 v144, v144, v52                              // 00000000A708: 0B206990
	v_mul_f32_e32 v145, v145, v53                              // 00000000A70C: 0B226B91
	v_mul_f32_e32 v146, v146, v54                              // 00000000A710: 0B246D92
	v_mul_f32_e32 v147, v147, v55                              // 00000000A714: 0B266F93
	v_mul_f32_e32 v144, v144, v80                              // 00000000A718: 0B20A190
	v_mul_f32_e32 v145, v145, v81                              // 00000000A71C: 0B22A391
	v_mul_f32_e32 v146, v146, v82                              // 00000000A720: 0B24A592
	v_mul_f32_e32 v147, v147, v83                              // 00000000A724: 0B26A793
	buffer_load_dwordx4 a[40:43], v44, s[12:15], 0 offen       // 00000000A728: E05C1000 8083282C
	v_mul_f32_e32 v52, v148, v148                              // 00000000A730: 0A692994
	v_mul_f32_e32 v53, v149, v149                              // 00000000A734: 0A6B2B95
	v_mul_f32_e32 v54, v150, v150                              // 00000000A738: 0A6D2D96
	v_mul_f32_e32 v55, v151, v151                              // 00000000A73C: 0A6F2F97
	v_fma_f32 v52, v52, s77, v1                                // 00000000A740: D1CB0034 04049B34
	v_fma_f32 v53, v53, s77, v1                                // 00000000A748: D1CB0035 04049B35
	v_fma_f32 v54, v54, s77, v1                                // 00000000A750: D1CB0036 04049B36
	v_fma_f32 v55, v55, s77, v1                                // 00000000A758: D1CB0037 04049B37
	v_mul_f32_e32 v52, v52, v148                               // 00000000A760: 0A692934
	v_mul_f32_e32 v53, v53, v149                               // 00000000A764: 0A6B2B35
	v_mul_f32_e32 v54, v54, v150                               // 00000000A768: 0A6D2D36
	v_mul_f32_e32 v55, v55, v151                               // 00000000A76C: 0A6F2F37
	v_mul_f32_e64 v52, v52, s6                                 // 00000000A770: D1050034 00000D34
	v_mul_f32_e64 v53, v53, s6                                 // 00000000A778: D1050035 00000D35
	v_mul_f32_e64 v54, v54, s6                                 // 00000000A780: D1050036 00000D36
	v_mul_f32_e64 v55, v55, s6                                 // 00000000A788: D1050037 00000D37
	v_exp_f32_e32 v52, v52                                     // 00000000A790: 7E684134
	v_exp_f32_e32 v53, v53                                     // 00000000A794: 7E6A4135
	v_exp_f32_e32 v54, v54                                     // 00000000A798: 7E6C4136
	v_exp_f32_e32 v55, v55                                     // 00000000A79C: 7E6E4137
	buffer_load_dwordx4 a[44:47], v45, s[12:15], 0 offen       // 00000000A7A0: E05C1000 80832C2D
	s_add_u32 s12, s78, s12                                    // 00000000A7A8: 800C0C4E
	s_addc_u32 s13, 0, s13                                     // 00000000A7AC: 820D0D80
	v_add_f32_e64 v52, v52, 1.0                                // 00000000A7B0: D1010034 0001E534
	v_add_f32_e64 v53, v53, 1.0                                // 00000000A7B8: D1010035 0001E535
	v_add_f32_e64 v54, v54, 1.0                                // 00000000A7C0: D1010036 0001E536
	v_add_f32_e64 v55, v55, 1.0                                // 00000000A7C8: D1010037 0001E537
	v_rcp_f32_e32 v52, v52                                     // 00000000A7D0: 7E684534
	v_rcp_f32_e32 v53, v53                                     // 00000000A7D4: 7E6A4535
	v_rcp_f32_e32 v54, v54                                     // 00000000A7D8: 7E6C4536
	v_rcp_f32_e32 v55, v55                                     // 00000000A7DC: 7E6E4537
	v_mul_f32_e32 v148, v148, v52                              // 00000000A7E0: 0B286994
	v_mul_f32_e32 v149, v149, v53                              // 00000000A7E4: 0B2A6B95
	v_mul_f32_e32 v150, v150, v54                              // 00000000A7E8: 0B2C6D96
	v_mul_f32_e32 v151, v151, v55                              // 00000000A7EC: 0B2E6F97
	v_mul_f32_e32 v148, v148, v84                              // 00000000A7F0: 0B28A994
	v_mul_f32_e32 v149, v149, v85                              // 00000000A7F4: 0B2AAB95
	v_mul_f32_e32 v150, v150, v86                              // 00000000A7F8: 0B2CAD96
	v_mul_f32_e32 v151, v151, v87                              // 00000000A7FC: 0B2EAF97
	s_waitcnt vmcnt(28)                                        // 00000000A800: BF8C4F7C
	buffer_load_dwordx4 a[48:51], v42, s[12:15], 0 offen       // 00000000A804: E05C1000 8083302A
	v_mul_f32_e32 v52, v152, v152                              // 00000000A80C: 0A693198
	v_mul_f32_e32 v53, v153, v153                              // 00000000A810: 0A6B3399
	v_mul_f32_e32 v54, v154, v154                              // 00000000A814: 0A6D359A
	v_mul_f32_e32 v55, v155, v155                              // 00000000A818: 0A6F379B
	v_fma_f32 v52, v52, s77, v1                                // 00000000A81C: D1CB0034 04049B34
	v_fma_f32 v53, v53, s77, v1                                // 00000000A824: D1CB0035 04049B35
	v_fma_f32 v54, v54, s77, v1                                // 00000000A82C: D1CB0036 04049B36
	v_fma_f32 v55, v55, s77, v1                                // 00000000A834: D1CB0037 04049B37
	v_mul_f32_e32 v52, v52, v152                               // 00000000A83C: 0A693134
	v_mul_f32_e32 v53, v53, v153                               // 00000000A840: 0A6B3335
	v_mul_f32_e32 v54, v54, v154                               // 00000000A844: 0A6D3536
	v_mul_f32_e32 v55, v55, v155                               // 00000000A848: 0A6F3737
	v_mul_f32_e64 v52, v52, s6                                 // 00000000A84C: D1050034 00000D34
	v_mul_f32_e64 v53, v53, s6                                 // 00000000A854: D1050035 00000D35
	v_mul_f32_e64 v54, v54, s6                                 // 00000000A85C: D1050036 00000D36
	v_mul_f32_e64 v55, v55, s6                                 // 00000000A864: D1050037 00000D37
	v_exp_f32_e32 v52, v52                                     // 00000000A86C: 7E684134
	v_exp_f32_e32 v53, v53                                     // 00000000A870: 7E6A4135
	v_exp_f32_e32 v54, v54                                     // 00000000A874: 7E6C4136
	v_exp_f32_e32 v55, v55                                     // 00000000A878: 7E6E4137
	buffer_load_dwordx4 a[52:55], v43, s[12:15], 0 offen       // 00000000A87C: E05C1000 8083342B
	v_add_f32_e64 v52, v52, 1.0                                // 00000000A884: D1010034 0001E534
	v_add_f32_e64 v53, v53, 1.0                                // 00000000A88C: D1010035 0001E535
	v_add_f32_e64 v54, v54, 1.0                                // 00000000A894: D1010036 0001E536
	v_add_f32_e64 v55, v55, 1.0                                // 00000000A89C: D1010037 0001E537
	v_rcp_f32_e32 v52, v52                                     // 00000000A8A4: 7E684534
	v_rcp_f32_e32 v53, v53                                     // 00000000A8A8: 7E6A4535
	v_rcp_f32_e32 v54, v54                                     // 00000000A8AC: 7E6C4536
	v_rcp_f32_e32 v55, v55                                     // 00000000A8B0: 7E6E4537
	v_mul_f32_e32 v152, v152, v52                              // 00000000A8B4: 0B306998
	v_mul_f32_e32 v153, v153, v53                              // 00000000A8B8: 0B326B99
	v_mul_f32_e32 v154, v154, v54                              // 00000000A8BC: 0B346D9A
	v_mul_f32_e32 v155, v155, v55                              // 00000000A8C0: 0B366F9B
	v_mul_f32_e32 v152, v152, v88                              // 00000000A8C4: 0B30B198
	v_mul_f32_e32 v153, v153, v89                              // 00000000A8C8: 0B32B399
	v_mul_f32_e32 v154, v154, v90                              // 00000000A8CC: 0B34B59A
	v_mul_f32_e32 v155, v155, v91                              // 00000000A8D0: 0B36B79B
	buffer_load_dwordx4 a[56:59], v44, s[12:15], 0 offen       // 00000000A8D4: E05C1000 8083382C
	v_mul_f32_e32 v52, v156, v156                              // 00000000A8DC: 0A69399C
	v_mul_f32_e32 v53, v157, v157                              // 00000000A8E0: 0A6B3B9D
	v_mul_f32_e32 v54, v158, v158                              // 00000000A8E4: 0A6D3D9E
	v_mul_f32_e32 v55, v159, v159                              // 00000000A8E8: 0A6F3F9F
	v_fma_f32 v52, v52, s77, v1                                // 00000000A8EC: D1CB0034 04049B34
	v_fma_f32 v53, v53, s77, v1                                // 00000000A8F4: D1CB0035 04049B35
	v_fma_f32 v54, v54, s77, v1                                // 00000000A8FC: D1CB0036 04049B36
	v_fma_f32 v55, v55, s77, v1                                // 00000000A904: D1CB0037 04049B37
	v_mul_f32_e32 v52, v52, v156                               // 00000000A90C: 0A693934
	v_mul_f32_e32 v53, v53, v157                               // 00000000A910: 0A6B3B35
	v_mul_f32_e32 v54, v54, v158                               // 00000000A914: 0A6D3D36
	v_mul_f32_e32 v55, v55, v159                               // 00000000A918: 0A6F3F37
	v_mul_f32_e64 v52, v52, s6                                 // 00000000A91C: D1050034 00000D34
	v_mul_f32_e64 v53, v53, s6                                 // 00000000A924: D1050035 00000D35
	v_mul_f32_e64 v54, v54, s6                                 // 00000000A92C: D1050036 00000D36
	v_mul_f32_e64 v55, v55, s6                                 // 00000000A934: D1050037 00000D37
	v_exp_f32_e32 v52, v52                                     // 00000000A93C: 7E684134
	v_exp_f32_e32 v53, v53                                     // 00000000A940: 7E6A4135
	v_exp_f32_e32 v54, v54                                     // 00000000A944: 7E6C4136
	v_exp_f32_e32 v55, v55                                     // 00000000A948: 7E6E4137
	buffer_load_dwordx4 a[60:63], v45, s[12:15], 0 offen       // 00000000A94C: E05C1000 80833C2D
	s_add_u32 s12, s78, s12                                    // 00000000A954: 800C0C4E
	s_addc_u32 s13, 0, s13                                     // 00000000A958: 820D0D80
	v_add_f32_e64 v52, v52, 1.0                                // 00000000A95C: D1010034 0001E534
	v_add_f32_e64 v53, v53, 1.0                                // 00000000A964: D1010035 0001E535
	v_add_f32_e64 v54, v54, 1.0                                // 00000000A96C: D1010036 0001E536
	v_add_f32_e64 v55, v55, 1.0                                // 00000000A974: D1010037 0001E537
	v_rcp_f32_e32 v52, v52                                     // 00000000A97C: 7E684534
	v_rcp_f32_e32 v53, v53                                     // 00000000A980: 7E6A4535
	v_rcp_f32_e32 v54, v54                                     // 00000000A984: 7E6C4536
	v_rcp_f32_e32 v55, v55                                     // 00000000A988: 7E6E4537
	v_mul_f32_e32 v156, v156, v52                              // 00000000A98C: 0B38699C
	v_mul_f32_e32 v157, v157, v53                              // 00000000A990: 0B3A6B9D
	v_mul_f32_e32 v158, v158, v54                              // 00000000A994: 0B3C6D9E
	v_mul_f32_e32 v159, v159, v55                              // 00000000A998: 0B3E6F9F
	v_mul_f32_e32 v156, v156, v92                              // 00000000A99C: 0B38B99C
	v_mul_f32_e32 v157, v157, v93                              // 00000000A9A0: 0B3ABB9D
	v_mul_f32_e32 v158, v158, v94                              // 00000000A9A4: 0B3CBD9E
	v_mul_f32_e32 v159, v159, v95                              // 00000000A9A8: 0B3EBF9F
	s_waitcnt vmcnt(28)                                        // 00000000A9AC: BF8C4F7C
	buffer_load_dwordx4 a[64:67], v42, s[12:15], 0 offen       // 00000000A9B0: E05C1000 8083402A
	v_mul_f32_e32 v52, v160, v160                              // 00000000A9B8: 0A6941A0
	v_mul_f32_e32 v53, v161, v161                              // 00000000A9BC: 0A6B43A1
	v_mul_f32_e32 v54, v162, v162                              // 00000000A9C0: 0A6D45A2
	v_mul_f32_e32 v55, v163, v163                              // 00000000A9C4: 0A6F47A3
	v_fma_f32 v52, v52, s77, v1                                // 00000000A9C8: D1CB0034 04049B34
	v_fma_f32 v53, v53, s77, v1                                // 00000000A9D0: D1CB0035 04049B35
	v_fma_f32 v54, v54, s77, v1                                // 00000000A9D8: D1CB0036 04049B36
	v_fma_f32 v55, v55, s77, v1                                // 00000000A9E0: D1CB0037 04049B37
	v_mul_f32_e32 v52, v52, v160                               // 00000000A9E8: 0A694134
	v_mul_f32_e32 v53, v53, v161                               // 00000000A9EC: 0A6B4335
	v_mul_f32_e32 v54, v54, v162                               // 00000000A9F0: 0A6D4536
	v_mul_f32_e32 v55, v55, v163                               // 00000000A9F4: 0A6F4737
	v_mul_f32_e64 v52, v52, s6                                 // 00000000A9F8: D1050034 00000D34
	v_mul_f32_e64 v53, v53, s6                                 // 00000000AA00: D1050035 00000D35
	v_mul_f32_e64 v54, v54, s6                                 // 00000000AA08: D1050036 00000D36
	v_mul_f32_e64 v55, v55, s6                                 // 00000000AA10: D1050037 00000D37
	v_exp_f32_e32 v52, v52                                     // 00000000AA18: 7E684134
	v_exp_f32_e32 v53, v53                                     // 00000000AA1C: 7E6A4135
	v_exp_f32_e32 v54, v54                                     // 00000000AA20: 7E6C4136
	v_exp_f32_e32 v55, v55                                     // 00000000AA24: 7E6E4137
	buffer_load_dwordx4 a[68:71], v43, s[12:15], 0 offen       // 00000000AA28: E05C1000 8083442B
	v_add_f32_e64 v52, v52, 1.0                                // 00000000AA30: D1010034 0001E534
	v_add_f32_e64 v53, v53, 1.0                                // 00000000AA38: D1010035 0001E535
	v_add_f32_e64 v54, v54, 1.0                                // 00000000AA40: D1010036 0001E536
	v_add_f32_e64 v55, v55, 1.0                                // 00000000AA48: D1010037 0001E537
	v_rcp_f32_e32 v52, v52                                     // 00000000AA50: 7E684534
	v_rcp_f32_e32 v53, v53                                     // 00000000AA54: 7E6A4535
	v_rcp_f32_e32 v54, v54                                     // 00000000AA58: 7E6C4536
	v_rcp_f32_e32 v55, v55                                     // 00000000AA5C: 7E6E4537
	v_mul_f32_e32 v160, v160, v52                              // 00000000AA60: 0B4069A0
	v_mul_f32_e32 v161, v161, v53                              // 00000000AA64: 0B426BA1
	v_mul_f32_e32 v162, v162, v54                              // 00000000AA68: 0B446DA2
	v_mul_f32_e32 v163, v163, v55                              // 00000000AA6C: 0B466FA3
	v_mul_f32_e32 v160, v160, v96                              // 00000000AA70: 0B40C1A0
	v_mul_f32_e32 v161, v161, v97                              // 00000000AA74: 0B42C3A1
	v_mul_f32_e32 v162, v162, v98                              // 00000000AA78: 0B44C5A2
	v_mul_f32_e32 v163, v163, v99                              // 00000000AA7C: 0B46C7A3
	buffer_load_dwordx4 a[72:75], v44, s[12:15], 0 offen       // 00000000AA80: E05C1000 8083482C
	v_mul_f32_e32 v52, v164, v164                              // 00000000AA88: 0A6949A4
	v_mul_f32_e32 v53, v165, v165                              // 00000000AA8C: 0A6B4BA5
	v_mul_f32_e32 v54, v166, v166                              // 00000000AA90: 0A6D4DA6
	v_mul_f32_e32 v55, v167, v167                              // 00000000AA94: 0A6F4FA7
	v_fma_f32 v52, v52, s77, v1                                // 00000000AA98: D1CB0034 04049B34
	v_fma_f32 v53, v53, s77, v1                                // 00000000AAA0: D1CB0035 04049B35
	v_fma_f32 v54, v54, s77, v1                                // 00000000AAA8: D1CB0036 04049B36
	v_fma_f32 v55, v55, s77, v1                                // 00000000AAB0: D1CB0037 04049B37
	v_mul_f32_e32 v52, v52, v164                               // 00000000AAB8: 0A694934
	v_mul_f32_e32 v53, v53, v165                               // 00000000AABC: 0A6B4B35
	v_mul_f32_e32 v54, v54, v166                               // 00000000AAC0: 0A6D4D36
	v_mul_f32_e32 v55, v55, v167                               // 00000000AAC4: 0A6F4F37
	v_mul_f32_e64 v52, v52, s6                                 // 00000000AAC8: D1050034 00000D34
	v_mul_f32_e64 v53, v53, s6                                 // 00000000AAD0: D1050035 00000D35
	v_mul_f32_e64 v54, v54, s6                                 // 00000000AAD8: D1050036 00000D36
	v_mul_f32_e64 v55, v55, s6                                 // 00000000AAE0: D1050037 00000D37
	v_exp_f32_e32 v52, v52                                     // 00000000AAE8: 7E684134
	v_exp_f32_e32 v53, v53                                     // 00000000AAEC: 7E6A4135
	v_exp_f32_e32 v54, v54                                     // 00000000AAF0: 7E6C4136
	v_exp_f32_e32 v55, v55                                     // 00000000AAF4: 7E6E4137
	buffer_load_dwordx4 a[76:79], v45, s[12:15], 0 offen       // 00000000AAF8: E05C1000 80834C2D
	s_add_u32 s12, s78, s12                                    // 00000000AB00: 800C0C4E
	s_addc_u32 s13, 0, s13                                     // 00000000AB04: 820D0D80
	v_add_f32_e64 v52, v52, 1.0                                // 00000000AB08: D1010034 0001E534
	v_add_f32_e64 v53, v53, 1.0                                // 00000000AB10: D1010035 0001E535
	v_add_f32_e64 v54, v54, 1.0                                // 00000000AB18: D1010036 0001E536
	v_add_f32_e64 v55, v55, 1.0                                // 00000000AB20: D1010037 0001E537
	v_rcp_f32_e32 v52, v52                                     // 00000000AB28: 7E684534
	v_rcp_f32_e32 v53, v53                                     // 00000000AB2C: 7E6A4535
	v_rcp_f32_e32 v54, v54                                     // 00000000AB30: 7E6C4536
	v_rcp_f32_e32 v55, v55                                     // 00000000AB34: 7E6E4537
	v_mul_f32_e32 v164, v164, v52                              // 00000000AB38: 0B4869A4
	v_mul_f32_e32 v165, v165, v53                              // 00000000AB3C: 0B4A6BA5
	v_mul_f32_e32 v166, v166, v54                              // 00000000AB40: 0B4C6DA6
	v_mul_f32_e32 v167, v167, v55                              // 00000000AB44: 0B4E6FA7
	v_mul_f32_e32 v164, v164, v100                             // 00000000AB48: 0B48C9A4
	v_mul_f32_e32 v165, v165, v101                             // 00000000AB4C: 0B4ACBA5
	v_mul_f32_e32 v166, v166, v102                             // 00000000AB50: 0B4CCDA6
	v_mul_f32_e32 v167, v167, v103                             // 00000000AB54: 0B4ECFA7
	s_waitcnt vmcnt(28)                                        // 00000000AB58: BF8C4F7C
	buffer_load_dwordx4 a[80:83], v42, s[12:15], 0 offen       // 00000000AB5C: E05C1000 8083502A
	v_mul_f32_e32 v52, v168, v168                              // 00000000AB64: 0A6951A8
	v_mul_f32_e32 v53, v169, v169                              // 00000000AB68: 0A6B53A9
	v_mul_f32_e32 v54, v170, v170                              // 00000000AB6C: 0A6D55AA
	v_mul_f32_e32 v55, v171, v171                              // 00000000AB70: 0A6F57AB
	v_fma_f32 v52, v52, s77, v1                                // 00000000AB74: D1CB0034 04049B34
	v_fma_f32 v53, v53, s77, v1                                // 00000000AB7C: D1CB0035 04049B35
	v_fma_f32 v54, v54, s77, v1                                // 00000000AB84: D1CB0036 04049B36
	v_fma_f32 v55, v55, s77, v1                                // 00000000AB8C: D1CB0037 04049B37
	v_mul_f32_e32 v52, v52, v168                               // 00000000AB94: 0A695134
	v_mul_f32_e32 v53, v53, v169                               // 00000000AB98: 0A6B5335
	v_mul_f32_e32 v54, v54, v170                               // 00000000AB9C: 0A6D5536
	v_mul_f32_e32 v55, v55, v171                               // 00000000ABA0: 0A6F5737
	v_mul_f32_e64 v52, v52, s6                                 // 00000000ABA4: D1050034 00000D34
	v_mul_f32_e64 v53, v53, s6                                 // 00000000ABAC: D1050035 00000D35
	v_mul_f32_e64 v54, v54, s6                                 // 00000000ABB4: D1050036 00000D36
	v_mul_f32_e64 v55, v55, s6                                 // 00000000ABBC: D1050037 00000D37
	v_exp_f32_e32 v52, v52                                     // 00000000ABC4: 7E684134
	v_exp_f32_e32 v53, v53                                     // 00000000ABC8: 7E6A4135
	v_exp_f32_e32 v54, v54                                     // 00000000ABCC: 7E6C4136
	v_exp_f32_e32 v55, v55                                     // 00000000ABD0: 7E6E4137
	buffer_load_dwordx4 a[84:87], v43, s[12:15], 0 offen       // 00000000ABD4: E05C1000 8083542B
	v_add_f32_e64 v52, v52, 1.0                                // 00000000ABDC: D1010034 0001E534
	v_add_f32_e64 v53, v53, 1.0                                // 00000000ABE4: D1010035 0001E535
	v_add_f32_e64 v54, v54, 1.0                                // 00000000ABEC: D1010036 0001E536
	v_add_f32_e64 v55, v55, 1.0                                // 00000000ABF4: D1010037 0001E537
	v_rcp_f32_e32 v52, v52                                     // 00000000ABFC: 7E684534
	v_rcp_f32_e32 v53, v53                                     // 00000000AC00: 7E6A4535
	v_rcp_f32_e32 v54, v54                                     // 00000000AC04: 7E6C4536
	v_rcp_f32_e32 v55, v55                                     // 00000000AC08: 7E6E4537
	v_mul_f32_e32 v168, v168, v52                              // 00000000AC0C: 0B5069A8
	v_mul_f32_e32 v169, v169, v53                              // 00000000AC10: 0B526BA9
	v_mul_f32_e32 v170, v170, v54                              // 00000000AC14: 0B546DAA
	v_mul_f32_e32 v171, v171, v55                              // 00000000AC18: 0B566FAB
	v_mul_f32_e32 v168, v168, v104                             // 00000000AC1C: 0B50D1A8
	v_mul_f32_e32 v169, v169, v105                             // 00000000AC20: 0B52D3A9
	v_mul_f32_e32 v170, v170, v106                             // 00000000AC24: 0B54D5AA
	v_mul_f32_e32 v171, v171, v107                             // 00000000AC28: 0B56D7AB
	buffer_load_dwordx4 a[88:91], v44, s[12:15], 0 offen       // 00000000AC2C: E05C1000 8083582C
	v_mul_f32_e32 v52, v172, v172                              // 00000000AC34: 0A6959AC
	v_mul_f32_e32 v53, v173, v173                              // 00000000AC38: 0A6B5BAD
	v_mul_f32_e32 v54, v174, v174                              // 00000000AC3C: 0A6D5DAE
	v_mul_f32_e32 v55, v175, v175                              // 00000000AC40: 0A6F5FAF
	v_fma_f32 v52, v52, s77, v1                                // 00000000AC44: D1CB0034 04049B34
	v_fma_f32 v53, v53, s77, v1                                // 00000000AC4C: D1CB0035 04049B35
	v_fma_f32 v54, v54, s77, v1                                // 00000000AC54: D1CB0036 04049B36
	v_fma_f32 v55, v55, s77, v1                                // 00000000AC5C: D1CB0037 04049B37
	v_mul_f32_e32 v52, v52, v172                               // 00000000AC64: 0A695934
	v_mul_f32_e32 v53, v53, v173                               // 00000000AC68: 0A6B5B35
	v_mul_f32_e32 v54, v54, v174                               // 00000000AC6C: 0A6D5D36
	v_mul_f32_e32 v55, v55, v175                               // 00000000AC70: 0A6F5F37
	v_mul_f32_e64 v52, v52, s6                                 // 00000000AC74: D1050034 00000D34
	v_mul_f32_e64 v53, v53, s6                                 // 00000000AC7C: D1050035 00000D35
	v_mul_f32_e64 v54, v54, s6                                 // 00000000AC84: D1050036 00000D36
	v_mul_f32_e64 v55, v55, s6                                 // 00000000AC8C: D1050037 00000D37
	v_exp_f32_e32 v52, v52                                     // 00000000AC94: 7E684134
	v_exp_f32_e32 v53, v53                                     // 00000000AC98: 7E6A4135
	v_exp_f32_e32 v54, v54                                     // 00000000AC9C: 7E6C4136
	v_exp_f32_e32 v55, v55                                     // 00000000ACA0: 7E6E4137
	buffer_load_dwordx4 a[92:95], v45, s[12:15], 0 offen       // 00000000ACA4: E05C1000 80835C2D
	s_add_u32 s12, s78, s12                                    // 00000000ACAC: 800C0C4E
	s_addc_u32 s13, 0, s13                                     // 00000000ACB0: 820D0D80
	v_add_f32_e64 v52, v52, 1.0                                // 00000000ACB4: D1010034 0001E534
	v_add_f32_e64 v53, v53, 1.0                                // 00000000ACBC: D1010035 0001E535
	v_add_f32_e64 v54, v54, 1.0                                // 00000000ACC4: D1010036 0001E536
	v_add_f32_e64 v55, v55, 1.0                                // 00000000ACCC: D1010037 0001E537
	v_rcp_f32_e32 v52, v52                                     // 00000000ACD4: 7E684534
	v_rcp_f32_e32 v53, v53                                     // 00000000ACD8: 7E6A4535
	v_rcp_f32_e32 v54, v54                                     // 00000000ACDC: 7E6C4536
	v_rcp_f32_e32 v55, v55                                     // 00000000ACE0: 7E6E4537
	v_mul_f32_e32 v172, v172, v52                              // 00000000ACE4: 0B5869AC
	v_mul_f32_e32 v173, v173, v53                              // 00000000ACE8: 0B5A6BAD
	v_mul_f32_e32 v174, v174, v54                              // 00000000ACEC: 0B5C6DAE
	v_mul_f32_e32 v175, v175, v55                              // 00000000ACF0: 0B5E6FAF
	v_mul_f32_e32 v172, v172, v108                             // 00000000ACF4: 0B58D9AC
	v_mul_f32_e32 v173, v173, v109                             // 00000000ACF8: 0B5ADBAD
	v_mul_f32_e32 v174, v174, v110                             // 00000000ACFC: 0B5CDDAE
	v_mul_f32_e32 v175, v175, v111                             // 00000000AD00: 0B5EDFAF
	s_waitcnt vmcnt(28)                                        // 00000000AD04: BF8C4F7C
	buffer_load_dwordx4 a[96:99], v42, s[12:15], 0 offen       // 00000000AD08: E05C1000 8083602A
	v_mul_f32_e32 v52, v176, v176                              // 00000000AD10: 0A6961B0
	v_mul_f32_e32 v53, v177, v177                              // 00000000AD14: 0A6B63B1
	v_mul_f32_e32 v54, v178, v178                              // 00000000AD18: 0A6D65B2
	v_mul_f32_e32 v55, v179, v179                              // 00000000AD1C: 0A6F67B3
	v_fma_f32 v52, v52, s77, v1                                // 00000000AD20: D1CB0034 04049B34
	v_fma_f32 v53, v53, s77, v1                                // 00000000AD28: D1CB0035 04049B35
	v_fma_f32 v54, v54, s77, v1                                // 00000000AD30: D1CB0036 04049B36
	v_fma_f32 v55, v55, s77, v1                                // 00000000AD38: D1CB0037 04049B37
	v_mul_f32_e32 v52, v52, v176                               // 00000000AD40: 0A696134
	v_mul_f32_e32 v53, v53, v177                               // 00000000AD44: 0A6B6335
	v_mul_f32_e32 v54, v54, v178                               // 00000000AD48: 0A6D6536
	v_mul_f32_e32 v55, v55, v179                               // 00000000AD4C: 0A6F6737
	v_mul_f32_e64 v52, v52, s6                                 // 00000000AD50: D1050034 00000D34
	v_mul_f32_e64 v53, v53, s6                                 // 00000000AD58: D1050035 00000D35
	v_mul_f32_e64 v54, v54, s6                                 // 00000000AD60: D1050036 00000D36
	v_mul_f32_e64 v55, v55, s6                                 // 00000000AD68: D1050037 00000D37
	v_exp_f32_e32 v52, v52                                     // 00000000AD70: 7E684134
	v_exp_f32_e32 v53, v53                                     // 00000000AD74: 7E6A4135
	v_exp_f32_e32 v54, v54                                     // 00000000AD78: 7E6C4136
	v_exp_f32_e32 v55, v55                                     // 00000000AD7C: 7E6E4137
	buffer_load_dwordx4 a[100:103], v43, s[12:15], 0 offen     // 00000000AD80: E05C1000 8083642B
	v_add_f32_e64 v52, v52, 1.0                                // 00000000AD88: D1010034 0001E534
	v_add_f32_e64 v53, v53, 1.0                                // 00000000AD90: D1010035 0001E535
	v_add_f32_e64 v54, v54, 1.0                                // 00000000AD98: D1010036 0001E536
	v_add_f32_e64 v55, v55, 1.0                                // 00000000ADA0: D1010037 0001E537
	v_rcp_f32_e32 v52, v52                                     // 00000000ADA8: 7E684534
	v_rcp_f32_e32 v53, v53                                     // 00000000ADAC: 7E6A4535
	v_rcp_f32_e32 v54, v54                                     // 00000000ADB0: 7E6C4536
	v_rcp_f32_e32 v55, v55                                     // 00000000ADB4: 7E6E4537
	v_mul_f32_e32 v176, v176, v52                              // 00000000ADB8: 0B6069B0
	v_mul_f32_e32 v177, v177, v53                              // 00000000ADBC: 0B626BB1
	v_mul_f32_e32 v178, v178, v54                              // 00000000ADC0: 0B646DB2
	v_mul_f32_e32 v179, v179, v55                              // 00000000ADC4: 0B666FB3
	v_mul_f32_e32 v176, v176, v112                             // 00000000ADC8: 0B60E1B0
	v_mul_f32_e32 v177, v177, v113                             // 00000000ADCC: 0B62E3B1
	v_mul_f32_e32 v178, v178, v114                             // 00000000ADD0: 0B64E5B2
	v_mul_f32_e32 v179, v179, v115                             // 00000000ADD4: 0B66E7B3
	buffer_load_dwordx4 a[104:107], v44, s[12:15], 0 offen     // 00000000ADD8: E05C1000 8083682C
	v_mul_f32_e32 v52, v180, v180                              // 00000000ADE0: 0A6969B4
	v_mul_f32_e32 v53, v181, v181                              // 00000000ADE4: 0A6B6BB5
	v_mul_f32_e32 v54, v182, v182                              // 00000000ADE8: 0A6D6DB6
	v_mul_f32_e32 v55, v183, v183                              // 00000000ADEC: 0A6F6FB7
	v_fma_f32 v52, v52, s77, v1                                // 00000000ADF0: D1CB0034 04049B34
	v_fma_f32 v53, v53, s77, v1                                // 00000000ADF8: D1CB0035 04049B35
	v_fma_f32 v54, v54, s77, v1                                // 00000000AE00: D1CB0036 04049B36
	v_fma_f32 v55, v55, s77, v1                                // 00000000AE08: D1CB0037 04049B37
	v_mul_f32_e32 v52, v52, v180                               // 00000000AE10: 0A696934
	v_mul_f32_e32 v53, v53, v181                               // 00000000AE14: 0A6B6B35
	v_mul_f32_e32 v54, v54, v182                               // 00000000AE18: 0A6D6D36
	v_mul_f32_e32 v55, v55, v183                               // 00000000AE1C: 0A6F6F37
	v_mul_f32_e64 v52, v52, s6                                 // 00000000AE20: D1050034 00000D34
	v_mul_f32_e64 v53, v53, s6                                 // 00000000AE28: D1050035 00000D35
	v_mul_f32_e64 v54, v54, s6                                 // 00000000AE30: D1050036 00000D36
	v_mul_f32_e64 v55, v55, s6                                 // 00000000AE38: D1050037 00000D37
	v_exp_f32_e32 v52, v52                                     // 00000000AE40: 7E684134
	v_exp_f32_e32 v53, v53                                     // 00000000AE44: 7E6A4135
	v_exp_f32_e32 v54, v54                                     // 00000000AE48: 7E6C4136
	v_exp_f32_e32 v55, v55                                     // 00000000AE4C: 7E6E4137
	buffer_load_dwordx4 a[108:111], v45, s[12:15], 0 offen     // 00000000AE50: E05C1000 80836C2D
	s_add_u32 s12, s78, s12                                    // 00000000AE58: 800C0C4E
	s_addc_u32 s13, 0, s13                                     // 00000000AE5C: 820D0D80
	v_add_f32_e64 v52, v52, 1.0                                // 00000000AE60: D1010034 0001E534
	v_add_f32_e64 v53, v53, 1.0                                // 00000000AE68: D1010035 0001E535
	v_add_f32_e64 v54, v54, 1.0                                // 00000000AE70: D1010036 0001E536
	v_add_f32_e64 v55, v55, 1.0                                // 00000000AE78: D1010037 0001E537
	v_rcp_f32_e32 v52, v52                                     // 00000000AE80: 7E684534
	v_rcp_f32_e32 v53, v53                                     // 00000000AE84: 7E6A4535
	v_rcp_f32_e32 v54, v54                                     // 00000000AE88: 7E6C4536
	v_rcp_f32_e32 v55, v55                                     // 00000000AE8C: 7E6E4537
	v_mul_f32_e32 v180, v180, v52                              // 00000000AE90: 0B6869B4
	v_mul_f32_e32 v181, v181, v53                              // 00000000AE94: 0B6A6BB5
	v_mul_f32_e32 v182, v182, v54                              // 00000000AE98: 0B6C6DB6
	v_mul_f32_e32 v183, v183, v55                              // 00000000AE9C: 0B6E6FB7
	v_mul_f32_e32 v180, v180, v116                             // 00000000AEA0: 0B68E9B4
	v_mul_f32_e32 v181, v181, v117                             // 00000000AEA4: 0B6AEBB5
	v_mul_f32_e32 v182, v182, v118                             // 00000000AEA8: 0B6CEDB6
	v_mul_f32_e32 v183, v183, v119                             // 00000000AEAC: 0B6EEFB7
	s_waitcnt vmcnt(28)                                        // 00000000AEB0: BF8C4F7C
	buffer_load_dwordx4 a[112:115], v42, s[12:15], 0 offen     // 00000000AEB4: E05C1000 8083702A
	v_mul_f32_e32 v52, v184, v184                              // 00000000AEBC: 0A6971B8
	v_mul_f32_e32 v53, v185, v185                              // 00000000AEC0: 0A6B73B9
	v_mul_f32_e32 v54, v186, v186                              // 00000000AEC4: 0A6D75BA
	v_mul_f32_e32 v55, v187, v187                              // 00000000AEC8: 0A6F77BB
	v_fma_f32 v52, v52, s77, v1                                // 00000000AECC: D1CB0034 04049B34
	v_fma_f32 v53, v53, s77, v1                                // 00000000AED4: D1CB0035 04049B35
	v_fma_f32 v54, v54, s77, v1                                // 00000000AEDC: D1CB0036 04049B36
	v_fma_f32 v55, v55, s77, v1                                // 00000000AEE4: D1CB0037 04049B37
	v_mul_f32_e32 v52, v52, v184                               // 00000000AEEC: 0A697134
	v_mul_f32_e32 v53, v53, v185                               // 00000000AEF0: 0A6B7335
	v_mul_f32_e32 v54, v54, v186                               // 00000000AEF4: 0A6D7536
	v_mul_f32_e32 v55, v55, v187                               // 00000000AEF8: 0A6F7737
	v_mul_f32_e64 v52, v52, s6                                 // 00000000AEFC: D1050034 00000D34
	v_mul_f32_e64 v53, v53, s6                                 // 00000000AF04: D1050035 00000D35
	v_mul_f32_e64 v54, v54, s6                                 // 00000000AF0C: D1050036 00000D36
	v_mul_f32_e64 v55, v55, s6                                 // 00000000AF14: D1050037 00000D37
	v_exp_f32_e32 v52, v52                                     // 00000000AF1C: 7E684134
	v_exp_f32_e32 v53, v53                                     // 00000000AF20: 7E6A4135
	v_exp_f32_e32 v54, v54                                     // 00000000AF24: 7E6C4136
	v_exp_f32_e32 v55, v55                                     // 00000000AF28: 7E6E4137
	buffer_load_dwordx4 a[116:119], v43, s[12:15], 0 offen     // 00000000AF2C: E05C1000 8083742B
	v_add_f32_e64 v52, v52, 1.0                                // 00000000AF34: D1010034 0001E534
	v_add_f32_e64 v53, v53, 1.0                                // 00000000AF3C: D1010035 0001E535
	v_add_f32_e64 v54, v54, 1.0                                // 00000000AF44: D1010036 0001E536
	v_add_f32_e64 v55, v55, 1.0                                // 00000000AF4C: D1010037 0001E537
	v_rcp_f32_e32 v52, v52                                     // 00000000AF54: 7E684534
	v_rcp_f32_e32 v53, v53                                     // 00000000AF58: 7E6A4535
	v_rcp_f32_e32 v54, v54                                     // 00000000AF5C: 7E6C4536
	v_rcp_f32_e32 v55, v55                                     // 00000000AF60: 7E6E4537
	v_mul_f32_e32 v184, v184, v52                              // 00000000AF64: 0B7069B8
	v_mul_f32_e32 v185, v185, v53                              // 00000000AF68: 0B726BB9
	v_mul_f32_e32 v186, v186, v54                              // 00000000AF6C: 0B746DBA
	v_mul_f32_e32 v187, v187, v55                              // 00000000AF70: 0B766FBB
	v_mul_f32_e32 v184, v184, v120                             // 00000000AF74: 0B70F1B8
	v_mul_f32_e32 v185, v185, v121                             // 00000000AF78: 0B72F3B9
	v_mul_f32_e32 v186, v186, v122                             // 00000000AF7C: 0B74F5BA
	v_mul_f32_e32 v187, v187, v123                             // 00000000AF80: 0B76F7BB
	buffer_load_dwordx4 a[120:123], v44, s[12:15], 0 offen     // 00000000AF84: E05C1000 8083782C
	v_mul_f32_e32 v52, v188, v188                              // 00000000AF8C: 0A6979BC
	v_mul_f32_e32 v53, v189, v189                              // 00000000AF90: 0A6B7BBD
	v_mul_f32_e32 v54, v190, v190                              // 00000000AF94: 0A6D7DBE
	v_mul_f32_e32 v55, v191, v191                              // 00000000AF98: 0A6F7FBF
	v_fma_f32 v52, v52, s77, v1                                // 00000000AF9C: D1CB0034 04049B34
	v_fma_f32 v53, v53, s77, v1                                // 00000000AFA4: D1CB0035 04049B35
	v_fma_f32 v54, v54, s77, v1                                // 00000000AFAC: D1CB0036 04049B36
	v_fma_f32 v55, v55, s77, v1                                // 00000000AFB4: D1CB0037 04049B37
	v_mul_f32_e32 v52, v52, v188                               // 00000000AFBC: 0A697934
	v_mul_f32_e32 v53, v53, v189                               // 00000000AFC0: 0A6B7B35
	v_mul_f32_e32 v54, v54, v190                               // 00000000AFC4: 0A6D7D36
	v_mul_f32_e32 v55, v55, v191                               // 00000000AFC8: 0A6F7F37
	v_mul_f32_e64 v52, v52, s6                                 // 00000000AFCC: D1050034 00000D34
	v_mul_f32_e64 v53, v53, s6                                 // 00000000AFD4: D1050035 00000D35
	v_mul_f32_e64 v54, v54, s6                                 // 00000000AFDC: D1050036 00000D36
	v_mul_f32_e64 v55, v55, s6                                 // 00000000AFE4: D1050037 00000D37
	v_exp_f32_e32 v52, v52                                     // 00000000AFEC: 7E684134
	v_exp_f32_e32 v53, v53                                     // 00000000AFF0: 7E6A4135
	v_exp_f32_e32 v54, v54                                     // 00000000AFF4: 7E6C4136
	v_exp_f32_e32 v55, v55                                     // 00000000AFF8: 7E6E4137
	buffer_load_dwordx4 a[124:127], v45, s[12:15], 0 offen     // 00000000AFFC: E05C1000 80837C2D
	v_add_f32_e64 v52, v52, 1.0                                // 00000000B004: D1010034 0001E534
	v_add_f32_e64 v53, v53, 1.0                                // 00000000B00C: D1010035 0001E535
	v_add_f32_e64 v54, v54, 1.0                                // 00000000B014: D1010036 0001E536
	v_add_f32_e64 v55, v55, 1.0                                // 00000000B01C: D1010037 0001E537
	v_rcp_f32_e32 v52, v52                                     // 00000000B024: 7E684534
	v_rcp_f32_e32 v53, v53                                     // 00000000B028: 7E6A4535
	v_rcp_f32_e32 v54, v54                                     // 00000000B02C: 7E6C4536
	v_rcp_f32_e32 v55, v55                                     // 00000000B030: 7E6E4537
	v_mul_f32_e32 v188, v188, v52                              // 00000000B034: 0B7869BC
	v_mul_f32_e32 v189, v189, v53                              // 00000000B038: 0B7A6BBD
	v_mul_f32_e32 v190, v190, v54                              // 00000000B03C: 0B7C6DBE
	v_mul_f32_e32 v191, v191, v55                              // 00000000B040: 0B7E6FBF
	v_mul_f32_e32 v188, v188, v124                             // 00000000B044: 0B78F9BC
	v_mul_f32_e32 v189, v189, v125                             // 00000000B048: 0B7AFBBD
	v_mul_f32_e32 v190, v190, v126                             // 00000000B04C: 0B7CFDBE
	v_mul_f32_e32 v191, v191, v127                             // 00000000B050: 0B7EFFBF
	v_mul_f32_dpp v128, v18, v128 row_newbcast:0 row_mask:0xf bank_mask:0xf// 00000000B054: 0B0100FA FF015012
	v_mul_f32_dpp v129, v18, v129 row_newbcast:1 row_mask:0xf bank_mask:0xf// 00000000B05C: 0B0302FA FF015112
	v_mul_f32_dpp v130, v18, v130 row_newbcast:2 row_mask:0xf bank_mask:0xf// 00000000B064: 0B0504FA FF015212
	v_mul_f32_dpp v131, v18, v131 row_newbcast:3 row_mask:0xf bank_mask:0xf// 00000000B06C: 0B0706FA FF015312
	v_mul_f32_dpp v132, v18, v132 row_newbcast:0 row_mask:0xf bank_mask:0xf// 00000000B074: 0B0908FA FF015012
	v_mul_f32_dpp v133, v18, v133 row_newbcast:1 row_mask:0xf bank_mask:0xf// 00000000B07C: 0B0B0AFA FF015112
	v_mul_f32_dpp v134, v18, v134 row_newbcast:2 row_mask:0xf bank_mask:0xf// 00000000B084: 0B0D0CFA FF015212
	v_mul_f32_dpp v135, v18, v135 row_newbcast:3 row_mask:0xf bank_mask:0xf// 00000000B08C: 0B0F0EFA FF015312
	v_mul_f32_dpp v136, v18, v136 row_newbcast:4 row_mask:0xf bank_mask:0xf// 00000000B094: 0B1110FA FF015412
	v_mul_f32_dpp v137, v18, v137 row_newbcast:5 row_mask:0xf bank_mask:0xf// 00000000B09C: 0B1312FA FF015512
	v_mul_f32_dpp v138, v18, v138 row_newbcast:6 row_mask:0xf bank_mask:0xf// 00000000B0A4: 0B1514FA FF015612
	v_mul_f32_dpp v139, v18, v139 row_newbcast:7 row_mask:0xf bank_mask:0xf// 00000000B0AC: 0B1716FA FF015712
	v_mul_f32_dpp v140, v18, v140 row_newbcast:4 row_mask:0xf bank_mask:0xf// 00000000B0B4: 0B1918FA FF015412
	v_mul_f32_dpp v141, v18, v141 row_newbcast:5 row_mask:0xf bank_mask:0xf// 00000000B0BC: 0B1B1AFA FF015512
	v_mul_f32_dpp v142, v18, v142 row_newbcast:6 row_mask:0xf bank_mask:0xf// 00000000B0C4: 0B1D1CFA FF015612
	v_mul_f32_dpp v143, v18, v143 row_newbcast:7 row_mask:0xf bank_mask:0xf// 00000000B0CC: 0B1F1EFA FF015712
	v_mul_f32_dpp v144, v18, v144 row_newbcast:8 row_mask:0xf bank_mask:0xf// 00000000B0D4: 0B2120FA FF015812
	v_mul_f32_dpp v145, v18, v145 row_newbcast:9 row_mask:0xf bank_mask:0xf// 00000000B0DC: 0B2322FA FF015912
	v_mul_f32_dpp v146, v18, v146 row_newbcast:10 row_mask:0xf bank_mask:0xf// 00000000B0E4: 0B2524FA FF015A12
	v_mul_f32_dpp v147, v18, v147 row_newbcast:11 row_mask:0xf bank_mask:0xf// 00000000B0EC: 0B2726FA FF015B12
	v_mul_f32_dpp v148, v18, v148 row_newbcast:8 row_mask:0xf bank_mask:0xf// 00000000B0F4: 0B2928FA FF015812
	v_mul_f32_dpp v149, v18, v149 row_newbcast:9 row_mask:0xf bank_mask:0xf// 00000000B0FC: 0B2B2AFA FF015912
	v_mul_f32_dpp v150, v18, v150 row_newbcast:10 row_mask:0xf bank_mask:0xf// 00000000B104: 0B2D2CFA FF015A12
	v_mul_f32_dpp v151, v18, v151 row_newbcast:11 row_mask:0xf bank_mask:0xf// 00000000B10C: 0B2F2EFA FF015B12
	v_mul_f32_dpp v152, v18, v152 row_newbcast:12 row_mask:0xf bank_mask:0xf// 00000000B114: 0B3130FA FF015C12
	v_mul_f32_dpp v153, v18, v153 row_newbcast:13 row_mask:0xf bank_mask:0xf// 00000000B11C: 0B3332FA FF015D12
	v_mul_f32_dpp v154, v18, v154 row_newbcast:14 row_mask:0xf bank_mask:0xf// 00000000B124: 0B3534FA FF015E12
	v_mul_f32_dpp v155, v18, v155 row_newbcast:15 row_mask:0xf bank_mask:0xf// 00000000B12C: 0B3736FA FF015F12
	v_mul_f32_dpp v156, v18, v156 row_newbcast:12 row_mask:0xf bank_mask:0xf// 00000000B134: 0B3938FA FF015C12
	v_mul_f32_dpp v157, v18, v157 row_newbcast:13 row_mask:0xf bank_mask:0xf// 00000000B13C: 0B3B3AFA FF015D12
	v_mul_f32_dpp v158, v18, v158 row_newbcast:14 row_mask:0xf bank_mask:0xf// 00000000B144: 0B3D3CFA FF015E12
	v_mul_f32_dpp v159, v18, v159 row_newbcast:15 row_mask:0xf bank_mask:0xf// 00000000B14C: 0B3F3EFA FF015F12
	v_mul_f32_dpp v160, v19, v160 row_newbcast:0 row_mask:0xf bank_mask:0xf// 00000000B154: 0B4140FA FF015013
	v_mul_f32_dpp v161, v19, v161 row_newbcast:1 row_mask:0xf bank_mask:0xf// 00000000B15C: 0B4342FA FF015113
	v_mul_f32_dpp v162, v19, v162 row_newbcast:2 row_mask:0xf bank_mask:0xf// 00000000B164: 0B4544FA FF015213
	v_mul_f32_dpp v163, v19, v163 row_newbcast:3 row_mask:0xf bank_mask:0xf// 00000000B16C: 0B4746FA FF015313
	v_mul_f32_dpp v164, v19, v164 row_newbcast:0 row_mask:0xf bank_mask:0xf// 00000000B174: 0B4948FA FF015013
	v_mul_f32_dpp v165, v19, v165 row_newbcast:1 row_mask:0xf bank_mask:0xf// 00000000B17C: 0B4B4AFA FF015113
	v_mul_f32_dpp v166, v19, v166 row_newbcast:2 row_mask:0xf bank_mask:0xf// 00000000B184: 0B4D4CFA FF015213
	v_mul_f32_dpp v167, v19, v167 row_newbcast:3 row_mask:0xf bank_mask:0xf// 00000000B18C: 0B4F4EFA FF015313
	v_mul_f32_dpp v168, v19, v168 row_newbcast:4 row_mask:0xf bank_mask:0xf// 00000000B194: 0B5150FA FF015413
	v_mul_f32_dpp v169, v19, v169 row_newbcast:5 row_mask:0xf bank_mask:0xf// 00000000B19C: 0B5352FA FF015513
	v_mul_f32_dpp v170, v19, v170 row_newbcast:6 row_mask:0xf bank_mask:0xf// 00000000B1A4: 0B5554FA FF015613
	v_mul_f32_dpp v171, v19, v171 row_newbcast:7 row_mask:0xf bank_mask:0xf// 00000000B1AC: 0B5756FA FF015713
	v_mul_f32_dpp v172, v19, v172 row_newbcast:4 row_mask:0xf bank_mask:0xf// 00000000B1B4: 0B5958FA FF015413
	v_mul_f32_dpp v173, v19, v173 row_newbcast:5 row_mask:0xf bank_mask:0xf// 00000000B1BC: 0B5B5AFA FF015513
	v_mul_f32_dpp v174, v19, v174 row_newbcast:6 row_mask:0xf bank_mask:0xf// 00000000B1C4: 0B5D5CFA FF015613
	v_mul_f32_dpp v175, v19, v175 row_newbcast:7 row_mask:0xf bank_mask:0xf// 00000000B1CC: 0B5F5EFA FF015713
	v_mul_f32_dpp v176, v19, v176 row_newbcast:8 row_mask:0xf bank_mask:0xf// 00000000B1D4: 0B6160FA FF015813
	v_mul_f32_dpp v177, v19, v177 row_newbcast:9 row_mask:0xf bank_mask:0xf// 00000000B1DC: 0B6362FA FF015913
	v_mul_f32_dpp v178, v19, v178 row_newbcast:10 row_mask:0xf bank_mask:0xf// 00000000B1E4: 0B6564FA FF015A13
	v_mul_f32_dpp v179, v19, v179 row_newbcast:11 row_mask:0xf bank_mask:0xf// 00000000B1EC: 0B6766FA FF015B13
	v_mul_f32_dpp v180, v19, v180 row_newbcast:8 row_mask:0xf bank_mask:0xf// 00000000B1F4: 0B6968FA FF015813
	v_mul_f32_dpp v181, v19, v181 row_newbcast:9 row_mask:0xf bank_mask:0xf// 00000000B1FC: 0B6B6AFA FF015913
	v_mul_f32_dpp v182, v19, v182 row_newbcast:10 row_mask:0xf bank_mask:0xf// 00000000B204: 0B6D6CFA FF015A13
	v_mul_f32_dpp v183, v19, v183 row_newbcast:11 row_mask:0xf bank_mask:0xf// 00000000B20C: 0B6F6EFA FF015B13
	v_mul_f32_dpp v184, v19, v184 row_newbcast:12 row_mask:0xf bank_mask:0xf// 00000000B214: 0B7170FA FF015C13
	v_mul_f32_dpp v185, v19, v185 row_newbcast:13 row_mask:0xf bank_mask:0xf// 00000000B21C: 0B7372FA FF015D13
	v_mul_f32_dpp v186, v19, v186 row_newbcast:14 row_mask:0xf bank_mask:0xf// 00000000B224: 0B7574FA FF015E13
	v_mul_f32_dpp v187, v19, v187 row_newbcast:15 row_mask:0xf bank_mask:0xf// 00000000B22C: 0B7776FA FF015F13
	v_mul_f32_dpp v188, v19, v188 row_newbcast:12 row_mask:0xf bank_mask:0xf// 00000000B234: 0B7978FA FF015C13
	v_mul_f32_dpp v189, v19, v189 row_newbcast:13 row_mask:0xf bank_mask:0xf// 00000000B23C: 0B7B7AFA FF015D13
	v_mul_f32_dpp v190, v19, v190 row_newbcast:14 row_mask:0xf bank_mask:0xf// 00000000B244: 0B7D7CFA FF015E13
	v_mul_f32_dpp v191, v19, v191 row_newbcast:15 row_mask:0xf bank_mask:0xf// 00000000B24C: 0B7F7EFA FF015F13
	v_lshlrev_b32_e32 v52, 2, v0                               // 00000000B254: 24680082
	s_mul_i32 s60, s82, s71                                    // 00000000B258: 923C4752
	v_add_u32_e64 v80, v52, s60                                // 00000000B25C: D1340050 00007934
	v_mov_b32_e32 v81, 0                                       // 00000000B264: 7EA20280
	s_mul_i32 s60, s83, s71                                    // 00000000B268: 923C4753
	v_add_u32_e64 v82, v52, s60                                // 00000000B26C: D1340052 00007934
	v_mov_b32_e32 v83, 0                                       // 00000000B274: 7EA60280
	s_mul_i32 s60, s84, s71                                    // 00000000B278: 923C4754
	v_add_u32_e64 v84, v52, s60                                // 00000000B27C: D1340054 00007934
	v_mov_b32_e32 v85, 0                                       // 00000000B284: 7EAA0280
	s_mul_i32 s60, s85, s71                                    // 00000000B288: 923C4755
	v_add_u32_e64 v86, v52, s60                                // 00000000B28C: D1340056 00007934
	v_mov_b32_e32 v87, 0                                       // 00000000B294: 7EAE0280
	s_mul_i32 s60, s86, s71                                    // 00000000B298: 923C4756
	v_add_u32_e64 v88, v52, s60                                // 00000000B29C: D1340058 00007934
	v_mov_b32_e32 v89, 0                                       // 00000000B2A4: 7EB20280
	s_mul_i32 s60, s87, s71                                    // 00000000B2A8: 923C4757
	v_add_u32_e64 v90, v52, s60                                // 00000000B2AC: D134005A 00007934
	v_mov_b32_e32 v91, 0                                       // 00000000B2B4: 7EB60280
	s_mul_i32 s60, s88, s71                                    // 00000000B2B8: 923C4758
	v_add_u32_e64 v92, v52, s60                                // 00000000B2BC: D134005C 00007934
	v_mov_b32_e32 v93, 0                                       // 00000000B2C4: 7EBA0280
	s_mul_i32 s60, s89, s71                                    // 00000000B2C8: 923C4759
	v_add_u32_e64 v94, v52, s60                                // 00000000B2CC: D134005E 00007934
	v_mov_b32_e32 v95, 0                                       // 00000000B2D4: 7EBE0280
	buffer_load_dword v12, v5, s[16:19], 0 offen               // 00000000B2D8: E0501000 80040C05
	v_mov_b32_e32 v22, 0x358637bd                              // 00000000B2E0: 7E2C02FF 358637BD
	v_mov_b32_e32 v23, 0x358637bd                              // 00000000B2E8: 7E2E02FF 358637BD
	v_max3_f32 v22, |v128|, |v129|, v22                        // 00000000B2F0: D1D30316 045B0380
	v_max3_f32 v22, |v130|, |v131|, v22                        // 00000000B2F8: D1D30316 045B0782
	v_max3_f32 v23, |v132|, |v133|, v23                        // 00000000B300: D1D30317 045F0B84
	v_max3_f32 v23, |v134|, |v135|, v23                        // 00000000B308: D1D30317 045F0F86
	v_max3_f32 v22, |v136|, |v137|, v22                        // 00000000B310: D1D30316 045B1388
	v_max3_f32 v22, |v138|, |v139|, v22                        // 00000000B318: D1D30316 045B178A
	v_max3_f32 v23, |v140|, |v141|, v23                        // 00000000B320: D1D30317 045F1B8C
	v_max3_f32 v23, |v142|, |v143|, v23                        // 00000000B328: D1D30317 045F1F8E
	v_max3_f32 v22, |v144|, |v145|, v22                        // 00000000B330: D1D30316 045B2390
	v_max3_f32 v22, |v146|, |v147|, v22                        // 00000000B338: D1D30316 045B2792
	v_max3_f32 v23, |v148|, |v149|, v23                        // 00000000B340: D1D30317 045F2B94
	v_max3_f32 v23, |v150|, |v151|, v23                        // 00000000B348: D1D30317 045F2F96
	v_max3_f32 v22, |v152|, |v153|, v22                        // 00000000B350: D1D30316 045B3398
	v_max3_f32 v22, |v154|, |v155|, v22                        // 00000000B358: D1D30316 045B379A
	v_max3_f32 v23, |v156|, |v157|, v23                        // 00000000B360: D1D30317 045F3B9C
	v_max3_f32 v23, |v158|, |v159|, v23                        // 00000000B368: D1D30317 045F3F9E
	v_max3_f32 v22, |v160|, |v161|, v22                        // 00000000B370: D1D30316 045B43A0
	v_max3_f32 v22, |v162|, |v163|, v22                        // 00000000B378: D1D30316 045B47A2
	v_max3_f32 v23, |v164|, |v165|, v23                        // 00000000B380: D1D30317 045F4BA4
	v_max3_f32 v23, |v166|, |v167|, v23                        // 00000000B388: D1D30317 045F4FA6
	v_max3_f32 v22, |v168|, |v169|, v22                        // 00000000B390: D1D30316 045B53A8
	v_max3_f32 v22, |v170|, |v171|, v22                        // 00000000B398: D1D30316 045B57AA
	v_max3_f32 v23, |v172|, |v173|, v23                        // 00000000B3A0: D1D30317 045F5BAC
	v_max3_f32 v23, |v174|, |v175|, v23                        // 00000000B3A8: D1D30317 045F5FAE
	v_max3_f32 v22, |v176|, |v177|, v22                        // 00000000B3B0: D1D30316 045B63B0
	v_max3_f32 v22, |v178|, |v179|, v22                        // 00000000B3B8: D1D30316 045B67B2
	v_max3_f32 v23, |v180|, |v181|, v23                        // 00000000B3C0: D1D30317 045F6BB4
	v_max3_f32 v23, |v182|, |v183|, v23                        // 00000000B3C8: D1D30317 045F6FB6
	v_max3_f32 v22, |v184|, |v185|, v22                        // 00000000B3D0: D1D30316 045B73B8
	v_max3_f32 v22, |v186|, |v187|, v22                        // 00000000B3D8: D1D30316 045B77BA
	v_max3_f32 v23, |v188|, |v189|, v23                        // 00000000B3E0: D1D30317 045F7BBC
	v_max3_f32 v23, |v190|, |v191|, v23                        // 00000000B3E8: D1D30317 045F7FBE
	v_lshlrev_b32_e32 v52, 3, v0                               // 00000000B3F0: 24680083
	s_mul_i32 s60, 0x200, s7                                   // 00000000B3F4: 923C07FF 00000200
	v_add_u32_e32 v52, s60, v52                                // 00000000B3FC: 6868683C
	ds_write_b64 v52, v[22:23] offset:16640                    // 00000000B400: D89A4100 00001634
	s_waitcnt lgkmcnt(0)                                       // 00000000B408: BF8CC07F
	s_barrier                                                  // 00000000B40C: BF8A0000
	v_and_b32_e32 v52, 15, v0                                  // 00000000B410: 2668008F
	v_lshlrev_b32_e32 v52, 3, v52                              // 00000000B414: 24686883
	ds_read_b64 v[96:97], v52 offset:16640                     // 00000000B418: D8EC4100 60000034
	ds_read_b64 v[98:99], v52 offset:16768                     // 00000000B420: D8EC4180 62000034
	ds_read_b64 v[100:101], v52 offset:16896                   // 00000000B428: D8EC4200 64000034
	ds_read_b64 v[102:103], v52 offset:17024                   // 00000000B430: D8EC4280 66000034
	ds_read_b64 v[104:105], v52 offset:17152                   // 00000000B438: D8EC4300 68000034
	ds_read_b64 v[106:107], v52 offset:17280                   // 00000000B440: D8EC4380 6A000034
	ds_read_b64 v[108:109], v52 offset:17408                   // 00000000B448: D8EC4400 6C000034
	ds_read_b64 v[110:111], v52 offset:17536                   // 00000000B450: D8EC4480 6E000034
	ds_read_b64 v[112:113], v52 offset:17664                   // 00000000B458: D8EC4500 70000034
	ds_read_b64 v[114:115], v52 offset:17792                   // 00000000B460: D8EC4580 72000034
	ds_read_b64 v[116:117], v52 offset:17920                   // 00000000B468: D8EC4600 74000034
	ds_read_b64 v[118:119], v52 offset:18048                   // 00000000B470: D8EC4680 76000034
	ds_read_b64 v[120:121], v52 offset:18176                   // 00000000B478: D8EC4700 78000034
	ds_read_b64 v[122:123], v52 offset:18304                   // 00000000B480: D8EC4780 7A000034
	ds_read_b64 v[124:125], v52 offset:18432                   // 00000000B488: D8EC4800 7C000034
	ds_read_b64 v[126:127], v52 offset:18560                   // 00000000B490: D8EC4880 7E000034
	s_waitcnt lgkmcnt(0)                                       // 00000000B498: BF8CC07F
	v_max3_f32 v22, |v96|, |v98|, v22                          // 00000000B49C: D1D30316 045AC560
	v_max3_f32 v23, |v97|, |v99|, v23                          // 00000000B4A4: D1D30317 045EC761
	v_max3_f32 v22, |v100|, |v102|, v22                        // 00000000B4AC: D1D30316 045ACD64
	v_max3_f32 v23, |v101|, |v103|, v23                        // 00000000B4B4: D1D30317 045ECF65
	v_max3_f32 v22, |v104|, |v106|, v22                        // 00000000B4BC: D1D30316 045AD568
	v_max3_f32 v23, |v105|, |v107|, v23                        // 00000000B4C4: D1D30317 045ED769
	v_max3_f32 v22, |v108|, |v110|, v22                        // 00000000B4CC: D1D30316 045ADD6C
	v_max3_f32 v23, |v109|, |v111|, v23                        // 00000000B4D4: D1D30317 045EDF6D
	v_max3_f32 v22, |v112|, |v114|, v22                        // 00000000B4DC: D1D30316 045AE570
	v_max3_f32 v23, |v113|, |v115|, v23                        // 00000000B4E4: D1D30317 045EE771
	v_max3_f32 v22, |v116|, |v118|, v22                        // 00000000B4EC: D1D30316 045AED74
	v_max3_f32 v23, |v117|, |v119|, v23                        // 00000000B4F4: D1D30317 045EEF75
	v_max3_f32 v22, |v120|, |v122|, v22                        // 00000000B4FC: D1D30316 045AF578
	v_max3_f32 v23, |v121|, |v123|, v23                        // 00000000B504: D1D30317 045EF779
	v_max3_f32 v22, |v124|, |v126|, v22                        // 00000000B50C: D1D30316 045AFD7C
	v_max3_f32 v23, |v125|, |v127|, v23                        // 00000000B514: D1D30317 045EFF7D
	v_rcp_f32_e32 v22, v22                                     // 00000000B51C: 7E2C4516
	v_rcp_f32_e32 v23, v23                                     // 00000000B520: 7E2E4517
	v_mov_b32_e32 v52, 0x43e00000                              // 00000000B524: 7E6802FF 43E00000
	v_mul_f32_e32 v22, v52, v22                                // 00000000B52C: 0A2C2D34
	v_mul_f32_e32 v23, v52, v23                                // 00000000B530: 0A2E2F34
	v_mul_f32_e32 v128, v22, v128                              // 00000000B534: 0B010116
	v_mul_f32_e32 v129, v22, v129                              // 00000000B538: 0B030316
	v_mul_f32_e32 v130, v22, v130                              // 00000000B53C: 0B050516
	v_mul_f32_e32 v131, v22, v131                              // 00000000B540: 0B070716
	v_cvt_pk_fp8_f32 v128, v128, v129                          // 00000000B544: D2A20080 00030380
	v_cvt_pk_fp8_f32 v128, v130, v131 op_sel:[0,0,1]           // 00000000B54C: D2A24080 00030782
	v_mul_f32_e32 v132, v23, v132                              // 00000000B554: 0B090917
	v_mul_f32_e32 v133, v23, v133                              // 00000000B558: 0B0B0B17
	v_mul_f32_e32 v134, v23, v134                              // 00000000B55C: 0B0D0D17
	v_mul_f32_e32 v135, v23, v135                              // 00000000B560: 0B0F0F17
	v_cvt_pk_fp8_f32 v129, v132, v133                          // 00000000B564: D2A20081 00030B84
	v_cvt_pk_fp8_f32 v129, v134, v135 op_sel:[0,0,1]           // 00000000B56C: D2A24081 00030F86
	v_mul_f32_e32 v136, v22, v136                              // 00000000B574: 0B111116
	v_mul_f32_e32 v137, v22, v137                              // 00000000B578: 0B131316
	v_mul_f32_e32 v138, v22, v138                              // 00000000B57C: 0B151516
	v_mul_f32_e32 v139, v22, v139                              // 00000000B580: 0B171716
	v_cvt_pk_fp8_f32 v130, v136, v137                          // 00000000B584: D2A20082 00031388
	v_cvt_pk_fp8_f32 v130, v138, v139 op_sel:[0,0,1]           // 00000000B58C: D2A24082 0003178A
	v_mul_f32_e32 v140, v23, v140                              // 00000000B594: 0B191917
	v_mul_f32_e32 v141, v23, v141                              // 00000000B598: 0B1B1B17
	v_mul_f32_e32 v142, v23, v142                              // 00000000B59C: 0B1D1D17
	v_mul_f32_e32 v143, v23, v143                              // 00000000B5A0: 0B1F1F17
	v_cvt_pk_fp8_f32 v131, v140, v141                          // 00000000B5A4: D2A20083 00031B8C
	v_cvt_pk_fp8_f32 v131, v142, v143 op_sel:[0,0,1]           // 00000000B5AC: D2A24083 00031F8E
	v_mul_f32_e32 v144, v22, v144                              // 00000000B5B4: 0B212116
	v_mul_f32_e32 v145, v22, v145                              // 00000000B5B8: 0B232316
	v_mul_f32_e32 v146, v22, v146                              // 00000000B5BC: 0B252516
	v_mul_f32_e32 v147, v22, v147                              // 00000000B5C0: 0B272716
	v_cvt_pk_fp8_f32 v132, v144, v145                          // 00000000B5C4: D2A20084 00032390
	v_cvt_pk_fp8_f32 v132, v146, v147 op_sel:[0,0,1]           // 00000000B5CC: D2A24084 00032792
	v_mul_f32_e32 v148, v23, v148                              // 00000000B5D4: 0B292917
	v_mul_f32_e32 v149, v23, v149                              // 00000000B5D8: 0B2B2B17
	v_mul_f32_e32 v150, v23, v150                              // 00000000B5DC: 0B2D2D17
	v_mul_f32_e32 v151, v23, v151                              // 00000000B5E0: 0B2F2F17
	v_cvt_pk_fp8_f32 v133, v148, v149                          // 00000000B5E4: D2A20085 00032B94
	v_cvt_pk_fp8_f32 v133, v150, v151 op_sel:[0,0,1]           // 00000000B5EC: D2A24085 00032F96
	v_mul_f32_e32 v152, v22, v152                              // 00000000B5F4: 0B313116
	v_mul_f32_e32 v153, v22, v153                              // 00000000B5F8: 0B333316
	v_mul_f32_e32 v154, v22, v154                              // 00000000B5FC: 0B353516
	v_mul_f32_e32 v155, v22, v155                              // 00000000B600: 0B373716
	v_cvt_pk_fp8_f32 v134, v152, v153                          // 00000000B604: D2A20086 00033398
	v_cvt_pk_fp8_f32 v134, v154, v155 op_sel:[0,0,1]           // 00000000B60C: D2A24086 0003379A
	v_mul_f32_e32 v156, v23, v156                              // 00000000B614: 0B393917
	v_mul_f32_e32 v157, v23, v157                              // 00000000B618: 0B3B3B17
	v_mul_f32_e32 v158, v23, v158                              // 00000000B61C: 0B3D3D17
	v_mul_f32_e32 v159, v23, v159                              // 00000000B620: 0B3F3F17
	v_cvt_pk_fp8_f32 v135, v156, v157                          // 00000000B624: D2A20087 00033B9C
	v_cvt_pk_fp8_f32 v135, v158, v159 op_sel:[0,0,1]           // 00000000B62C: D2A24087 00033F9E
	v_mul_f32_e32 v160, v22, v160                              // 00000000B634: 0B414116
	v_mul_f32_e32 v161, v22, v161                              // 00000000B638: 0B434316
	v_mul_f32_e32 v162, v22, v162                              // 00000000B63C: 0B454516
	v_mul_f32_e32 v163, v22, v163                              // 00000000B640: 0B474716
	v_cvt_pk_fp8_f32 v136, v160, v161                          // 00000000B644: D2A20088 000343A0
	v_cvt_pk_fp8_f32 v136, v162, v163 op_sel:[0,0,1]           // 00000000B64C: D2A24088 000347A2
	v_mul_f32_e32 v164, v23, v164                              // 00000000B654: 0B494917
	v_mul_f32_e32 v165, v23, v165                              // 00000000B658: 0B4B4B17
	v_mul_f32_e32 v166, v23, v166                              // 00000000B65C: 0B4D4D17
	v_mul_f32_e32 v167, v23, v167                              // 00000000B660: 0B4F4F17
	v_cvt_pk_fp8_f32 v137, v164, v165                          // 00000000B664: D2A20089 00034BA4
	v_cvt_pk_fp8_f32 v137, v166, v167 op_sel:[0,0,1]           // 00000000B66C: D2A24089 00034FA6
	v_mul_f32_e32 v168, v22, v168                              // 00000000B674: 0B515116
	v_mul_f32_e32 v169, v22, v169                              // 00000000B678: 0B535316
	v_mul_f32_e32 v170, v22, v170                              // 00000000B67C: 0B555516
	v_mul_f32_e32 v171, v22, v171                              // 00000000B680: 0B575716
	v_cvt_pk_fp8_f32 v138, v168, v169                          // 00000000B684: D2A2008A 000353A8
	v_cvt_pk_fp8_f32 v138, v170, v171 op_sel:[0,0,1]           // 00000000B68C: D2A2408A 000357AA
	v_mul_f32_e32 v172, v23, v172                              // 00000000B694: 0B595917
	v_mul_f32_e32 v173, v23, v173                              // 00000000B698: 0B5B5B17
	v_mul_f32_e32 v174, v23, v174                              // 00000000B69C: 0B5D5D17
	v_mul_f32_e32 v175, v23, v175                              // 00000000B6A0: 0B5F5F17
	v_cvt_pk_fp8_f32 v139, v172, v173                          // 00000000B6A4: D2A2008B 00035BAC
	v_cvt_pk_fp8_f32 v139, v174, v175 op_sel:[0,0,1]           // 00000000B6AC: D2A2408B 00035FAE
	v_mul_f32_e32 v176, v22, v176                              // 00000000B6B4: 0B616116
	v_mul_f32_e32 v177, v22, v177                              // 00000000B6B8: 0B636316
	v_mul_f32_e32 v178, v22, v178                              // 00000000B6BC: 0B656516
	v_mul_f32_e32 v179, v22, v179                              // 00000000B6C0: 0B676716
	v_cvt_pk_fp8_f32 v140, v176, v177                          // 00000000B6C4: D2A2008C 000363B0
	v_cvt_pk_fp8_f32 v140, v178, v179 op_sel:[0,0,1]           // 00000000B6CC: D2A2408C 000367B2
	v_mul_f32_e32 v180, v23, v180                              // 00000000B6D4: 0B696917
	v_mul_f32_e32 v181, v23, v181                              // 00000000B6D8: 0B6B6B17
	v_mul_f32_e32 v182, v23, v182                              // 00000000B6DC: 0B6D6D17
	v_mul_f32_e32 v183, v23, v183                              // 00000000B6E0: 0B6F6F17
	v_cvt_pk_fp8_f32 v141, v180, v181                          // 00000000B6E4: D2A2008D 00036BB4
	v_cvt_pk_fp8_f32 v141, v182, v183 op_sel:[0,0,1]           // 00000000B6EC: D2A2408D 00036FB6
	v_mul_f32_e32 v184, v22, v184                              // 00000000B6F4: 0B717116
	v_mul_f32_e32 v185, v22, v185                              // 00000000B6F8: 0B737316
	v_mul_f32_e32 v186, v22, v186                              // 00000000B6FC: 0B757516
	v_mul_f32_e32 v187, v22, v187                              // 00000000B700: 0B777716
	v_cvt_pk_fp8_f32 v142, v184, v185                          // 00000000B704: D2A2008E 000373B8
	v_cvt_pk_fp8_f32 v142, v186, v187 op_sel:[0,0,1]           // 00000000B70C: D2A2408E 000377BA
	v_mul_f32_e32 v188, v23, v188                              // 00000000B714: 0B797917
	v_mul_f32_e32 v189, v23, v189                              // 00000000B718: 0B7B7B17
	v_mul_f32_e32 v190, v23, v190                              // 00000000B71C: 0B7D7D17
	v_mul_f32_e32 v191, v23, v191                              // 00000000B720: 0B7F7F17
	v_cvt_pk_fp8_f32 v143, v188, v189                          // 00000000B724: D2A2008F 00037BBC
	v_cvt_pk_fp8_f32 v143, v190, v191 op_sel:[0,0,1]           // 00000000B72C: D2A2408F 00037FBE
	v_rcp_f32_e32 v24, v22                                     // 00000000B734: 7E304516
	v_rcp_f32_e32 v25, v23                                     // 00000000B738: 7E324517
	v_lshrrev_b32_e32 v52, 5, v0                               // 00000000B73C: 20680085
	v_lshlrev_b32_e32 v53, 5, v52                              // 00000000B740: 246A6885
	v_and_b32_e32 v52, 31, v0                                  // 00000000B744: 2668009F
	v_lshrrev_b32_e32 v54, 4, v52                              // 00000000B748: 206C6884
	v_add_u32_e32 v53, v54, v53                                // 00000000B74C: 686A6B36
	v_and_b32_e32 v52, 15, v0                                  // 00000000B750: 2668008F
	v_lshlrev_b32_e32 v52, 1, v52                              // 00000000B754: 24686881
	v_add_u32_e32 v53, v52, v53                                // 00000000B758: 686A6B34
	v_lshlrev_b32_e32 v52, 2, v53                              // 00000000B75C: 24686A82
	s_mul_i32 s60, 0x100, s7                                   // 00000000B760: 923C07FF 00000100
	v_add_u32_e64 v52, v52, s60                                // 00000000B768: D1340034 00007934
	ds_write_b32 v52, v128 offset:18688                        // 00000000B770: D81A4900 00008034
	ds_write_b32 v52, v129 offset:26880                        // 00000000B778: D81A6900 00008134
	ds_write_b32 v52, v130 offset:19712                        // 00000000B780: D81A4D00 00008234
	ds_write_b32 v52, v131 offset:27904                        // 00000000B788: D81A6D00 00008334
	ds_write_b32 v52, v132 offset:20736                        // 00000000B790: D81A5100 00008434
	ds_write_b32 v52, v133 offset:28928                        // 00000000B798: D81A7100 00008534
	ds_write_b32 v52, v134 offset:21760                        // 00000000B7A0: D81A5500 00008634
	ds_write_b32 v52, v135 offset:29952                        // 00000000B7A8: D81A7500 00008734
	ds_write_b32 v52, v136 offset:22784                        // 00000000B7B0: D81A5900 00008834
	ds_write_b32 v52, v137 offset:30976                        // 00000000B7B8: D81A7900 00008934
	ds_write_b32 v52, v138 offset:23808                        // 00000000B7C0: D81A5D00 00008A34
	ds_write_b32 v52, v139 offset:32000                        // 00000000B7C8: D81A7D00 00008B34
	ds_write_b32 v52, v140 offset:24832                        // 00000000B7D0: D81A6100 00008C34
	ds_write_b32 v52, v141 offset:33024                        // 00000000B7D8: D81A8100 00008D34
	ds_write_b32 v52, v142 offset:25856                        // 00000000B7E0: D81A6500 00008E34
	ds_write_b32 v52, v143 offset:34048                        // 00000000B7E8: D81A8500 00008F34
	s_waitcnt lgkmcnt(0)                                       // 00000000B7F0: BF8CC07F
	s_barrier                                                  // 00000000B7F4: BF8A0000
	v_lshrrev_b32_e32 v52, 4, v0                               // 00000000B7F8: 20680084
	v_lshlrev_b32_e32 v53, 6, v52                              // 00000000B7FC: 246A6886
	v_and_b32_e32 v52, 15, v0                                  // 00000000B800: 2668008F
	v_lshlrev_b32_e32 v52, 1, v52                              // 00000000B804: 24686881
	v_add_u32_e32 v53, v52, v53                                // 00000000B808: 686A6B34
	v_lshlrev_b32_e32 v52, 2, v53                              // 00000000B80C: 24686A82
	ds_read_b64 v[128:129], v52 offset:18688                   // 00000000B810: D8EC4900 80000034
	ds_read_b64 v[130:131], v52 offset:18816                   // 00000000B818: D8EC4980 82000034
	ds_read_b64 v[132:133], v52 offset:19712                   // 00000000B820: D8EC4D00 84000034
	ds_read_b64 v[134:135], v52 offset:19840                   // 00000000B828: D8EC4D80 86000034
	ds_read_b64 v[136:137], v52 offset:20736                   // 00000000B830: D8EC5100 88000034
	ds_read_b64 v[138:139], v52 offset:20864                   // 00000000B838: D8EC5180 8A000034
	ds_read_b64 v[140:141], v52 offset:21760                   // 00000000B840: D8EC5500 8C000034
	ds_read_b64 v[142:143], v52 offset:21888                   // 00000000B848: D8EC5580 8E000034
	ds_read_b64 v[144:145], v52 offset:22784                   // 00000000B850: D8EC5900 90000034
	ds_read_b64 v[146:147], v52 offset:22912                   // 00000000B858: D8EC5980 92000034
	ds_read_b64 v[148:149], v52 offset:23808                   // 00000000B860: D8EC5D00 94000034
	ds_read_b64 v[150:151], v52 offset:23936                   // 00000000B868: D8EC5D80 96000034
	ds_read_b64 v[152:153], v52 offset:24832                   // 00000000B870: D8EC6100 98000034
	ds_read_b64 v[154:155], v52 offset:24960                   // 00000000B878: D8EC6180 9A000034
	ds_read_b64 v[156:157], v52 offset:25856                   // 00000000B880: D8EC6500 9C000034
	ds_read_b64 v[158:159], v52 offset:25984                   // 00000000B888: D8EC6580 9E000034
	ds_read_b64 v[160:161], v52 offset:26880                   // 00000000B890: D8EC6900 A0000034
	ds_read_b64 v[162:163], v52 offset:27008                   // 00000000B898: D8EC6980 A2000034
	ds_read_b64 v[164:165], v52 offset:27904                   // 00000000B8A0: D8EC6D00 A4000034
	ds_read_b64 v[166:167], v52 offset:28032                   // 00000000B8A8: D8EC6D80 A6000034
	ds_read_b64 v[168:169], v52 offset:28928                   // 00000000B8B0: D8EC7100 A8000034
	ds_read_b64 v[170:171], v52 offset:29056                   // 00000000B8B8: D8EC7180 AA000034
	ds_read_b64 v[172:173], v52 offset:29952                   // 00000000B8C0: D8EC7500 AC000034
	ds_read_b64 v[174:175], v52 offset:30080                   // 00000000B8C8: D8EC7580 AE000034
	ds_read_b64 v[176:177], v52 offset:30976                   // 00000000B8D0: D8EC7900 B0000034
	ds_read_b64 v[178:179], v52 offset:31104                   // 00000000B8D8: D8EC7980 B2000034
	ds_read_b64 v[180:181], v52 offset:32000                   // 00000000B8E0: D8EC7D00 B4000034
	ds_read_b64 v[182:183], v52 offset:32128                   // 00000000B8E8: D8EC7D80 B6000034
	ds_read_b64 v[184:185], v52 offset:33024                   // 00000000B8F0: D8EC8100 B8000034
	ds_read_b64 v[186:187], v52 offset:33152                   // 00000000B8F8: D8EC8180 BA000034
	ds_read_b64 v[188:189], v52 offset:34048                   // 00000000B900: D8EC8500 BC000034
	ds_read_b64 v[190:191], v52 offset:34176                   // 00000000B908: D8EC8580 BE000034
	s_add_u32 s12, s56, s12                                    // 00000000B910: 800C0C38
	s_addc_u32 s13, 0, s13                                     // 00000000B914: 820D0D80
	s_add_u32 s16, s79, s16                                    // 00000000B918: 8010104F
	s_addc_u32 s17, 0, s17                                     // 00000000B91C: 82111180
	s_mov_b32 s80, 0                                           // 00000000B920: BED00080
	s_waitcnt vmcnt(0) expcnt(0) lgkmcnt(0)                    // 00000000B924: BF8C0000

000000000000b928 <label_22CA>:
	s_waitcnt vmcnt(45)                                        // 00000000B928: BF8C8F7D
	s_barrier                                                  // 00000000B92C: BF8A0000
	v_mfma_f32_16x16x32_fp8_fp8 v[192:195], a[0:1], v[128:129], 0// 00000000B930: D3F300C0 0A030100
	buffer_load_dwordx4 a[128:131], v42, s[12:15], 0 offen     // 00000000B938: E05C1000 8083802A
	v_mfma_f32_16x16x32_fp8_fp8 v[192:195], a[2:3], v[130:131], v[192:195]// 00000000B940: D3F300C0 0F030502
	v_mfma_f32_16x16x32_fp8_fp8 v[196:199], a[0:1], v[160:161], 0// 00000000B948: D3F300C4 0A034100
	v_mfma_f32_16x16x32_fp8_fp8 v[196:199], a[2:3], v[162:163], v[196:199]// 00000000B950: D3F300C4 0F134502
	v_mfma_f32_16x16x32_fp8_fp8 v[200:203], a[4:5], v[128:129], 0// 00000000B958: D3F300C8 0A030104
	buffer_load_dwordx4 a[132:135], v43, s[12:15], 0 offen     // 00000000B960: E05C1000 8083842B
	v_mfma_f32_16x16x32_fp8_fp8 v[200:203], a[6:7], v[130:131], v[200:203]// 00000000B968: D3F300C8 0F230506
	v_mfma_f32_16x16x32_fp8_fp8 v[204:207], a[4:5], v[160:161], 0// 00000000B970: D3F300CC 0A034104
	v_mfma_f32_16x16x32_fp8_fp8 v[204:207], a[6:7], v[162:163], v[204:207]// 00000000B978: D3F300CC 0F334506
	v_mfma_f32_16x16x32_fp8_fp8 v[208:211], a[8:9], v[128:129], 0// 00000000B980: D3F300D0 0A030108
	buffer_load_dwordx4 a[136:139], v44, s[12:15], 0 offen     // 00000000B988: E05C1000 8083882C
	v_mfma_f32_16x16x32_fp8_fp8 v[208:211], a[10:11], v[130:131], v[208:211]// 00000000B990: D3F300D0 0F43050A
	v_mfma_f32_16x16x32_fp8_fp8 v[212:215], a[8:9], v[160:161], 0// 00000000B998: D3F300D4 0A034108
	v_mfma_f32_16x16x32_fp8_fp8 v[212:215], a[10:11], v[162:163], v[212:215]// 00000000B9A0: D3F300D4 0F53450A
	v_mfma_f32_16x16x32_fp8_fp8 v[216:219], a[12:13], v[128:129], 0// 00000000B9A8: D3F300D8 0A03010C
	buffer_load_dwordx4 a[140:143], v45, s[12:15], 0 offen     // 00000000B9B0: E05C1000 80838C2D
	s_add_u32 s12, s78, s12                                    // 00000000B9B8: 800C0C4E
	s_addc_u32 s13, 0, s13                                     // 00000000B9BC: 820D0D80
	v_mfma_f32_16x16x32_fp8_fp8 v[216:219], a[14:15], v[130:131], v[216:219]// 00000000B9C0: D3F300D8 0F63050E
	v_mfma_f32_16x16x32_fp8_fp8 v[220:223], a[12:13], v[160:161], 0// 00000000B9C8: D3F300DC 0A03410C
	v_mfma_f32_16x16x32_fp8_fp8 v[220:223], a[14:15], v[162:163], v[220:223]// 00000000B9D0: D3F300DC 0F73450E
	s_waitcnt vmcnt(45)                                        // 00000000B9D8: BF8C8F7D
	v_mfma_f32_16x16x32_fp8_fp8 v[192:195], a[16:17], v[132:133], v[192:195]// 00000000B9DC: D3F300C0 0F030910
	buffer_load_dwordx4 a[144:147], v42, s[12:15], 0 offen     // 00000000B9E4: E05C1000 8083902A
	v_mfma_f32_16x16x32_fp8_fp8 v[192:195], a[18:19], v[134:135], v[192:195]// 00000000B9EC: D3F300C0 0F030D12
	v_mfma_f32_16x16x32_fp8_fp8 v[196:199], a[16:17], v[164:165], v[196:199]// 00000000B9F4: D3F300C4 0F134910
	v_mfma_f32_16x16x32_fp8_fp8 v[196:199], a[18:19], v[166:167], v[196:199]// 00000000B9FC: D3F300C4 0F134D12
	v_mfma_f32_16x16x32_fp8_fp8 v[200:203], a[20:21], v[132:133], v[200:203]// 00000000BA04: D3F300C8 0F230914
	buffer_load_dwordx4 a[148:151], v43, s[12:15], 0 offen     // 00000000BA0C: E05C1000 8083942B
	v_mfma_f32_16x16x32_fp8_fp8 v[200:203], a[22:23], v[134:135], v[200:203]// 00000000BA14: D3F300C8 0F230D16
	v_mfma_f32_16x16x32_fp8_fp8 v[204:207], a[20:21], v[164:165], v[204:207]// 00000000BA1C: D3F300CC 0F334914
	v_mfma_f32_16x16x32_fp8_fp8 v[204:207], a[22:23], v[166:167], v[204:207]// 00000000BA24: D3F300CC 0F334D16
	v_mfma_f32_16x16x32_fp8_fp8 v[208:211], a[24:25], v[132:133], v[208:211]// 00000000BA2C: D3F300D0 0F430918
	buffer_load_dwordx4 a[152:155], v44, s[12:15], 0 offen     // 00000000BA34: E05C1000 8083982C
	v_mfma_f32_16x16x32_fp8_fp8 v[208:211], a[26:27], v[134:135], v[208:211]// 00000000BA3C: D3F300D0 0F430D1A
	v_mfma_f32_16x16x32_fp8_fp8 v[212:215], a[24:25], v[164:165], v[212:215]// 00000000BA44: D3F300D4 0F534918
	v_mfma_f32_16x16x32_fp8_fp8 v[212:215], a[26:27], v[166:167], v[212:215]// 00000000BA4C: D3F300D4 0F534D1A
	v_mfma_f32_16x16x32_fp8_fp8 v[216:219], a[28:29], v[132:133], v[216:219]// 00000000BA54: D3F300D8 0F63091C
	buffer_load_dwordx4 a[156:159], v45, s[12:15], 0 offen     // 00000000BA5C: E05C1000 80839C2D
	s_add_u32 s12, s78, s12                                    // 00000000BA64: 800C0C4E
	s_addc_u32 s13, 0, s13                                     // 00000000BA68: 820D0D80
	v_mfma_f32_16x16x32_fp8_fp8 v[216:219], a[30:31], v[134:135], v[216:219]// 00000000BA6C: D3F300D8 0F630D1E
	v_mfma_f32_16x16x32_fp8_fp8 v[220:223], a[28:29], v[164:165], v[220:223]// 00000000BA74: D3F300DC 0F73491C
	v_mfma_f32_16x16x32_fp8_fp8 v[220:223], a[30:31], v[166:167], v[220:223]// 00000000BA7C: D3F300DC 0F734D1E
	s_waitcnt vmcnt(45)                                        // 00000000BA84: BF8C8F7D
	v_mfma_f32_16x16x32_fp8_fp8 v[192:195], a[32:33], v[136:137], v[192:195]// 00000000BA88: D3F300C0 0F031120
	buffer_load_dwordx4 a[160:163], v42, s[12:15], 0 offen     // 00000000BA90: E05C1000 8083A02A
	v_mfma_f32_16x16x32_fp8_fp8 v[192:195], a[34:35], v[138:139], v[192:195]// 00000000BA98: D3F300C0 0F031522
	v_mfma_f32_16x16x32_fp8_fp8 v[196:199], a[32:33], v[168:169], v[196:199]// 00000000BAA0: D3F300C4 0F135120
	v_mfma_f32_16x16x32_fp8_fp8 v[196:199], a[34:35], v[170:171], v[196:199]// 00000000BAA8: D3F300C4 0F135522
	v_mfma_f32_16x16x32_fp8_fp8 v[200:203], a[36:37], v[136:137], v[200:203]// 00000000BAB0: D3F300C8 0F231124
	buffer_load_dwordx4 a[164:167], v43, s[12:15], 0 offen     // 00000000BAB8: E05C1000 8083A42B
	v_mfma_f32_16x16x32_fp8_fp8 v[200:203], a[38:39], v[138:139], v[200:203]// 00000000BAC0: D3F300C8 0F231526
	v_mfma_f32_16x16x32_fp8_fp8 v[204:207], a[36:37], v[168:169], v[204:207]// 00000000BAC8: D3F300CC 0F335124
	v_mfma_f32_16x16x32_fp8_fp8 v[204:207], a[38:39], v[170:171], v[204:207]// 00000000BAD0: D3F300CC 0F335526
	v_mfma_f32_16x16x32_fp8_fp8 v[208:211], a[40:41], v[136:137], v[208:211]// 00000000BAD8: D3F300D0 0F431128
	buffer_load_dwordx4 a[168:171], v44, s[12:15], 0 offen     // 00000000BAE0: E05C1000 8083A82C
	v_mfma_f32_16x16x32_fp8_fp8 v[208:211], a[42:43], v[138:139], v[208:211]// 00000000BAE8: D3F300D0 0F43152A
	v_mfma_f32_16x16x32_fp8_fp8 v[212:215], a[40:41], v[168:169], v[212:215]// 00000000BAF0: D3F300D4 0F535128
	v_mfma_f32_16x16x32_fp8_fp8 v[212:215], a[42:43], v[170:171], v[212:215]// 00000000BAF8: D3F300D4 0F53552A
	v_mfma_f32_16x16x32_fp8_fp8 v[216:219], a[44:45], v[136:137], v[216:219]// 00000000BB00: D3F300D8 0F63112C
	buffer_load_dwordx4 a[172:175], v45, s[12:15], 0 offen     // 00000000BB08: E05C1000 8083AC2D
	s_add_u32 s12, s78, s12                                    // 00000000BB10: 800C0C4E
	s_addc_u32 s13, 0, s13                                     // 00000000BB14: 820D0D80
	v_mfma_f32_16x16x32_fp8_fp8 v[216:219], a[46:47], v[138:139], v[216:219]// 00000000BB18: D3F300D8 0F63152E
	v_mfma_f32_16x16x32_fp8_fp8 v[220:223], a[44:45], v[168:169], v[220:223]// 00000000BB20: D3F300DC 0F73512C
	v_mfma_f32_16x16x32_fp8_fp8 v[220:223], a[46:47], v[170:171], v[220:223]// 00000000BB28: D3F300DC 0F73552E
	s_waitcnt vmcnt(45)                                        // 00000000BB30: BF8C8F7D
	v_mfma_f32_16x16x32_fp8_fp8 v[192:195], a[48:49], v[140:141], v[192:195]// 00000000BB34: D3F300C0 0F031930
	buffer_load_dwordx4 a[176:179], v42, s[12:15], 0 offen     // 00000000BB3C: E05C1000 8083B02A
	v_mfma_f32_16x16x32_fp8_fp8 v[192:195], a[50:51], v[142:143], v[192:195]// 00000000BB44: D3F300C0 0F031D32
	v_mfma_f32_16x16x32_fp8_fp8 v[196:199], a[48:49], v[172:173], v[196:199]// 00000000BB4C: D3F300C4 0F135930
	v_mfma_f32_16x16x32_fp8_fp8 v[196:199], a[50:51], v[174:175], v[196:199]// 00000000BB54: D3F300C4 0F135D32
	v_mfma_f32_16x16x32_fp8_fp8 v[200:203], a[52:53], v[140:141], v[200:203]// 00000000BB5C: D3F300C8 0F231934
	buffer_load_dwordx4 a[180:183], v43, s[12:15], 0 offen     // 00000000BB64: E05C1000 8083B42B
	v_mfma_f32_16x16x32_fp8_fp8 v[200:203], a[54:55], v[142:143], v[200:203]// 00000000BB6C: D3F300C8 0F231D36
	v_mfma_f32_16x16x32_fp8_fp8 v[204:207], a[52:53], v[172:173], v[204:207]// 00000000BB74: D3F300CC 0F335934
	v_mfma_f32_16x16x32_fp8_fp8 v[204:207], a[54:55], v[174:175], v[204:207]// 00000000BB7C: D3F300CC 0F335D36
	v_mfma_f32_16x16x32_fp8_fp8 v[208:211], a[56:57], v[140:141], v[208:211]// 00000000BB84: D3F300D0 0F431938
	buffer_load_dwordx4 a[184:187], v44, s[12:15], 0 offen     // 00000000BB8C: E05C1000 8083B82C
	v_mfma_f32_16x16x32_fp8_fp8 v[208:211], a[58:59], v[142:143], v[208:211]// 00000000BB94: D3F300D0 0F431D3A
	v_mfma_f32_16x16x32_fp8_fp8 v[212:215], a[56:57], v[172:173], v[212:215]// 00000000BB9C: D3F300D4 0F535938
	v_mfma_f32_16x16x32_fp8_fp8 v[212:215], a[58:59], v[174:175], v[212:215]// 00000000BBA4: D3F300D4 0F535D3A
	v_mfma_f32_16x16x32_fp8_fp8 v[216:219], a[60:61], v[140:141], v[216:219]// 00000000BBAC: D3F300D8 0F63193C
	buffer_load_dwordx4 a[188:191], v45, s[12:15], 0 offen     // 00000000BBB4: E05C1000 8083BC2D
	s_add_u32 s12, s78, s12                                    // 00000000BBBC: 800C0C4E
	s_addc_u32 s13, 0, s13                                     // 00000000BBC0: 820D0D80
	v_mfma_f32_16x16x32_fp8_fp8 v[216:219], a[62:63], v[142:143], v[216:219]// 00000000BBC4: D3F300D8 0F631D3E
	v_mfma_f32_16x16x32_fp8_fp8 v[220:223], a[60:61], v[172:173], v[220:223]// 00000000BBCC: D3F300DC 0F73593C
	v_mfma_f32_16x16x32_fp8_fp8 v[220:223], a[62:63], v[174:175], v[220:223]// 00000000BBD4: D3F300DC 0F735D3E
	s_waitcnt vmcnt(45)                                        // 00000000BBDC: BF8C8F7D
	v_mfma_f32_16x16x32_fp8_fp8 v[192:195], a[64:65], v[144:145], v[192:195]// 00000000BBE0: D3F300C0 0F032140
	buffer_load_dwordx4 a[192:195], v42, s[12:15], 0 offen     // 00000000BBE8: E05C1000 8083C02A
	v_mfma_f32_16x16x32_fp8_fp8 v[192:195], a[66:67], v[146:147], v[192:195]// 00000000BBF0: D3F300C0 0F032542
	v_mfma_f32_16x16x32_fp8_fp8 v[196:199], a[64:65], v[176:177], v[196:199]// 00000000BBF8: D3F300C4 0F136140
	v_mfma_f32_16x16x32_fp8_fp8 v[196:199], a[66:67], v[178:179], v[196:199]// 00000000BC00: D3F300C4 0F136542
	v_mfma_f32_16x16x32_fp8_fp8 v[200:203], a[68:69], v[144:145], v[200:203]// 00000000BC08: D3F300C8 0F232144
	buffer_load_dwordx4 a[196:199], v43, s[12:15], 0 offen     // 00000000BC10: E05C1000 8083C42B
	v_mfma_f32_16x16x32_fp8_fp8 v[200:203], a[70:71], v[146:147], v[200:203]// 00000000BC18: D3F300C8 0F232546
	v_mfma_f32_16x16x32_fp8_fp8 v[204:207], a[68:69], v[176:177], v[204:207]// 00000000BC20: D3F300CC 0F336144
	v_mfma_f32_16x16x32_fp8_fp8 v[204:207], a[70:71], v[178:179], v[204:207]// 00000000BC28: D3F300CC 0F336546
	v_mfma_f32_16x16x32_fp8_fp8 v[208:211], a[72:73], v[144:145], v[208:211]// 00000000BC30: D3F300D0 0F432148
	buffer_load_dwordx4 a[200:203], v44, s[12:15], 0 offen     // 00000000BC38: E05C1000 8083C82C
	v_mfma_f32_16x16x32_fp8_fp8 v[208:211], a[74:75], v[146:147], v[208:211]// 00000000BC40: D3F300D0 0F43254A
	v_mfma_f32_16x16x32_fp8_fp8 v[212:215], a[72:73], v[176:177], v[212:215]// 00000000BC48: D3F300D4 0F536148
	v_mfma_f32_16x16x32_fp8_fp8 v[212:215], a[74:75], v[178:179], v[212:215]// 00000000BC50: D3F300D4 0F53654A
	v_mfma_f32_16x16x32_fp8_fp8 v[216:219], a[76:77], v[144:145], v[216:219]// 00000000BC58: D3F300D8 0F63214C
	buffer_load_dwordx4 a[204:207], v45, s[12:15], 0 offen     // 00000000BC60: E05C1000 8083CC2D
	s_add_u32 s12, s78, s12                                    // 00000000BC68: 800C0C4E
	s_addc_u32 s13, 0, s13                                     // 00000000BC6C: 820D0D80
	v_mfma_f32_16x16x32_fp8_fp8 v[216:219], a[78:79], v[146:147], v[216:219]// 00000000BC70: D3F300D8 0F63254E
	v_mfma_f32_16x16x32_fp8_fp8 v[220:223], a[76:77], v[176:177], v[220:223]// 00000000BC78: D3F300DC 0F73614C
	v_mfma_f32_16x16x32_fp8_fp8 v[220:223], a[78:79], v[178:179], v[220:223]// 00000000BC80: D3F300DC 0F73654E
	s_waitcnt vmcnt(45)                                        // 00000000BC88: BF8C8F7D
	v_mfma_f32_16x16x32_fp8_fp8 v[192:195], a[80:81], v[148:149], v[192:195]// 00000000BC8C: D3F300C0 0F032950
	buffer_load_dwordx4 a[208:211], v42, s[12:15], 0 offen     // 00000000BC94: E05C1000 8083D02A
	v_mfma_f32_16x16x32_fp8_fp8 v[192:195], a[82:83], v[150:151], v[192:195]// 00000000BC9C: D3F300C0 0F032D52
	v_mfma_f32_16x16x32_fp8_fp8 v[196:199], a[80:81], v[180:181], v[196:199]// 00000000BCA4: D3F300C4 0F136950
	v_mfma_f32_16x16x32_fp8_fp8 v[196:199], a[82:83], v[182:183], v[196:199]// 00000000BCAC: D3F300C4 0F136D52
	v_mfma_f32_16x16x32_fp8_fp8 v[200:203], a[84:85], v[148:149], v[200:203]// 00000000BCB4: D3F300C8 0F232954
	buffer_load_dwordx4 a[212:215], v43, s[12:15], 0 offen     // 00000000BCBC: E05C1000 8083D42B
	v_mfma_f32_16x16x32_fp8_fp8 v[200:203], a[86:87], v[150:151], v[200:203]// 00000000BCC4: D3F300C8 0F232D56
	v_mfma_f32_16x16x32_fp8_fp8 v[204:207], a[84:85], v[180:181], v[204:207]// 00000000BCCC: D3F300CC 0F336954
	v_mfma_f32_16x16x32_fp8_fp8 v[204:207], a[86:87], v[182:183], v[204:207]// 00000000BCD4: D3F300CC 0F336D56
	v_mfma_f32_16x16x32_fp8_fp8 v[208:211], a[88:89], v[148:149], v[208:211]// 00000000BCDC: D3F300D0 0F432958
	buffer_load_dwordx4 a[216:219], v44, s[12:15], 0 offen     // 00000000BCE4: E05C1000 8083D82C
	v_mfma_f32_16x16x32_fp8_fp8 v[208:211], a[90:91], v[150:151], v[208:211]// 00000000BCEC: D3F300D0 0F432D5A
	v_mfma_f32_16x16x32_fp8_fp8 v[212:215], a[88:89], v[180:181], v[212:215]// 00000000BCF4: D3F300D4 0F536958
	v_mfma_f32_16x16x32_fp8_fp8 v[212:215], a[90:91], v[182:183], v[212:215]// 00000000BCFC: D3F300D4 0F536D5A
	v_mfma_f32_16x16x32_fp8_fp8 v[216:219], a[92:93], v[148:149], v[216:219]// 00000000BD04: D3F300D8 0F63295C
	buffer_load_dwordx4 a[220:223], v45, s[12:15], 0 offen     // 00000000BD0C: E05C1000 8083DC2D
	s_add_u32 s12, s78, s12                                    // 00000000BD14: 800C0C4E
	s_addc_u32 s13, 0, s13                                     // 00000000BD18: 820D0D80
	v_mfma_f32_16x16x32_fp8_fp8 v[216:219], a[94:95], v[150:151], v[216:219]// 00000000BD1C: D3F300D8 0F632D5E
	v_mfma_f32_16x16x32_fp8_fp8 v[220:223], a[92:93], v[180:181], v[220:223]// 00000000BD24: D3F300DC 0F73695C
	v_mfma_f32_16x16x32_fp8_fp8 v[220:223], a[94:95], v[182:183], v[220:223]// 00000000BD2C: D3F300DC 0F736D5E
	s_waitcnt vmcnt(45)                                        // 00000000BD34: BF8C8F7D
	v_mfma_f32_16x16x32_fp8_fp8 v[192:195], a[96:97], v[152:153], v[192:195]// 00000000BD38: D3F300C0 0F033160
	buffer_load_dwordx4 a[224:227], v42, s[12:15], 0 offen     // 00000000BD40: E05C1000 8083E02A
	v_mfma_f32_16x16x32_fp8_fp8 v[192:195], a[98:99], v[154:155], v[192:195]// 00000000BD48: D3F300C0 0F033562
	v_mfma_f32_16x16x32_fp8_fp8 v[196:199], a[96:97], v[184:185], v[196:199]// 00000000BD50: D3F300C4 0F137160
	v_mfma_f32_16x16x32_fp8_fp8 v[196:199], a[98:99], v[186:187], v[196:199]// 00000000BD58: D3F300C4 0F137562
	v_mfma_f32_16x16x32_fp8_fp8 v[200:203], a[100:101], v[152:153], v[200:203]// 00000000BD60: D3F300C8 0F233164
	buffer_load_dwordx4 a[228:231], v43, s[12:15], 0 offen     // 00000000BD68: E05C1000 8083E42B
	v_mfma_f32_16x16x32_fp8_fp8 v[200:203], a[102:103], v[154:155], v[200:203]// 00000000BD70: D3F300C8 0F233566
	v_mfma_f32_16x16x32_fp8_fp8 v[204:207], a[100:101], v[184:185], v[204:207]// 00000000BD78: D3F300CC 0F337164
	v_mfma_f32_16x16x32_fp8_fp8 v[204:207], a[102:103], v[186:187], v[204:207]// 00000000BD80: D3F300CC 0F337566
	v_mfma_f32_16x16x32_fp8_fp8 v[208:211], a[104:105], v[152:153], v[208:211]// 00000000BD88: D3F300D0 0F433168
	buffer_load_dwordx4 a[232:235], v44, s[12:15], 0 offen     // 00000000BD90: E05C1000 8083E82C
	v_mfma_f32_16x16x32_fp8_fp8 v[208:211], a[106:107], v[154:155], v[208:211]// 00000000BD98: D3F300D0 0F43356A
	v_mfma_f32_16x16x32_fp8_fp8 v[212:215], a[104:105], v[184:185], v[212:215]// 00000000BDA0: D3F300D4 0F537168
	v_mfma_f32_16x16x32_fp8_fp8 v[212:215], a[106:107], v[186:187], v[212:215]// 00000000BDA8: D3F300D4 0F53756A
	v_mfma_f32_16x16x32_fp8_fp8 v[216:219], a[108:109], v[152:153], v[216:219]// 00000000BDB0: D3F300D8 0F63316C
	buffer_load_dwordx4 a[236:239], v45, s[12:15], 0 offen     // 00000000BDB8: E05C1000 8083EC2D
	s_add_u32 s12, s78, s12                                    // 00000000BDC0: 800C0C4E
	s_addc_u32 s13, 0, s13                                     // 00000000BDC4: 820D0D80
	v_mfma_f32_16x16x32_fp8_fp8 v[216:219], a[110:111], v[154:155], v[216:219]// 00000000BDC8: D3F300D8 0F63356E
	v_mfma_f32_16x16x32_fp8_fp8 v[220:223], a[108:109], v[184:185], v[220:223]// 00000000BDD0: D3F300DC 0F73716C
	v_mfma_f32_16x16x32_fp8_fp8 v[220:223], a[110:111], v[186:187], v[220:223]// 00000000BDD8: D3F300DC 0F73756E
	s_waitcnt vmcnt(44)                                        // 00000000BDE0: BF8C8F7C
	v_mfma_f32_16x16x32_fp8_fp8 v[192:195], a[112:113], v[156:157], v[192:195]// 00000000BDE4: D3F300C0 0F033970
	buffer_load_dwordx4 a[240:243], v42, s[12:15], 0 offen     // 00000000BDEC: E05C1000 8083F02A
	v_mfma_f32_16x16x32_fp8_fp8 v[192:195], a[114:115], v[158:159], v[192:195]// 00000000BDF4: D3F300C0 0F033D72
	v_mfma_f32_16x16x32_fp8_fp8 v[196:199], a[112:113], v[188:189], v[196:199]// 00000000BDFC: D3F300C4 0F137970
	buffer_load_dword v13, v5, s[16:19], 0 offen               // 00000000BE04: E0501000 80040D05
	v_mfma_f32_16x16x32_fp8_fp8 v[196:199], a[114:115], v[190:191], v[196:199]// 00000000BE0C: D3F300C4 0F137D72
	v_mfma_f32_16x16x32_fp8_fp8 v[200:203], a[116:117], v[156:157], v[200:203]// 00000000BE14: D3F300C8 0F233974
	buffer_load_dwordx4 a[244:247], v43, s[12:15], 0 offen     // 00000000BE1C: E05C1000 8083F42B
	v_mfma_f32_16x16x32_fp8_fp8 v[200:203], a[118:119], v[158:159], v[200:203]// 00000000BE24: D3F300C8 0F233D76
	v_mfma_f32_16x16x32_fp8_fp8 v[204:207], a[116:117], v[188:189], v[204:207]// 00000000BE2C: D3F300CC 0F337974
	v_mfma_f32_16x16x32_fp8_fp8 v[204:207], a[118:119], v[190:191], v[204:207]// 00000000BE34: D3F300CC 0F337D76
	v_mfma_f32_16x16x32_fp8_fp8 v[208:211], a[120:121], v[156:157], v[208:211]// 00000000BE3C: D3F300D0 0F433978
	buffer_load_dwordx4 a[248:251], v44, s[12:15], 0 offen     // 00000000BE44: E05C1000 8083F82C
	v_mfma_f32_16x16x32_fp8_fp8 v[208:211], a[122:123], v[158:159], v[208:211]// 00000000BE4C: D3F300D0 0F433D7A
	v_mfma_f32_16x16x32_fp8_fp8 v[212:215], a[120:121], v[188:189], v[212:215]// 00000000BE54: D3F300D4 0F537978
	v_mfma_f32_16x16x32_fp8_fp8 v[212:215], a[122:123], v[190:191], v[212:215]// 00000000BE5C: D3F300D4 0F537D7A
	v_mfma_f32_16x16x32_fp8_fp8 v[216:219], a[124:125], v[156:157], v[216:219]// 00000000BE64: D3F300D8 0F63397C
	buffer_load_dwordx4 a[252:255], v45, s[12:15], 0 offen     // 00000000BE6C: E05C1000 8083FC2D
	v_mfma_f32_16x16x32_fp8_fp8 v[216:219], a[126:127], v[158:159], v[216:219]// 00000000BE74: D3F300D8 0F633D7E
	v_mfma_f32_16x16x32_fp8_fp8 v[220:223], a[124:125], v[188:189], v[220:223]// 00000000BE7C: D3F300DC 0F73797C
	v_mfma_f32_16x16x32_fp8_fp8 v[220:223], a[126:127], v[190:191], v[220:223]// 00000000BE84: D3F300DC 0F737D7E
	s_add_u32 s60, 0x200, s80                                  // 00000000BE8C: 803C50FF 00000200
	s_cmp_lt_u32 s60, s81                                      // 00000000BE94: BF0A513C
	s_cselect_b32 s56, s56, 0                                  // 00000000BE98: 85388038
	s_cselect_b32 s78, s78, 0                                  // 00000000BE9C: 854E804E
	s_cselect_b32 s79, s79, 0                                  // 00000000BEA0: 854F804F
	s_add_u32 s12, s56, s12                                    // 00000000BEA4: 800C0C38
	s_addc_u32 s13, 0, s13                                     // 00000000BEA8: 820D0D80
	s_add_u32 s16, s79, s16                                    // 00000000BEAC: 8010104F
	s_addc_u32 s17, 0, s17                                     // 00000000BEB0: 82111180
	v_mul_f32_e32 v192, v24, v192                              // 00000000BEB4: 0B818118
	v_mul_f32_e32 v193, v24, v193                              // 00000000BEB8: 0B838318
	v_mul_f32_e32 v194, v24, v194                              // 00000000BEBC: 0B858518
	v_mul_f32_e32 v195, v24, v195                              // 00000000BEC0: 0B878718
	v_mul_f32_dpp v192, v12, v192 row_newbcast:0 row_mask:0xf bank_mask:0xf// 00000000BEC4: 0B8180FA FF01500C
	v_mul_f32_dpp v193, v12, v193 row_newbcast:1 row_mask:0xf bank_mask:0xf// 00000000BECC: 0B8382FA FF01510C
	v_mul_f32_dpp v194, v12, v194 row_newbcast:2 row_mask:0xf bank_mask:0xf// 00000000BED4: 0B8584FA FF01520C
	v_mul_f32_dpp v195, v12, v195 row_newbcast:3 row_mask:0xf bank_mask:0xf// 00000000BEDC: 0B8786FA FF01530C
	v_mul_f32_e32 v192, v20, v192                              // 00000000BEE4: 0B818114
	v_mul_f32_e32 v193, v20, v193                              // 00000000BEE8: 0B838314
	v_mul_f32_e32 v194, v20, v194                              // 00000000BEEC: 0B858514
	v_mul_f32_e32 v195, v20, v195                              // 00000000BEF0: 0B878714
	v_mul_f32_e32 v196, v25, v196                              // 00000000BEF4: 0B898919
	v_mul_f32_e32 v197, v25, v197                              // 00000000BEF8: 0B8B8B19
	v_mul_f32_e32 v198, v25, v198                              // 00000000BEFC: 0B8D8D19
	v_mul_f32_e32 v199, v25, v199                              // 00000000BF00: 0B8F8F19
	v_mul_f32_dpp v196, v12, v196 row_newbcast:0 row_mask:0xf bank_mask:0xf// 00000000BF04: 0B8988FA FF01500C
	v_mul_f32_dpp v197, v12, v197 row_newbcast:1 row_mask:0xf bank_mask:0xf// 00000000BF0C: 0B8B8AFA FF01510C
	v_mul_f32_dpp v198, v12, v198 row_newbcast:2 row_mask:0xf bank_mask:0xf// 00000000BF14: 0B8D8CFA FF01520C
	v_mul_f32_dpp v199, v12, v199 row_newbcast:3 row_mask:0xf bank_mask:0xf// 00000000BF1C: 0B8F8EFA FF01530C
	v_mul_f32_e32 v196, v21, v196                              // 00000000BF24: 0B898915
	v_mul_f32_e32 v197, v21, v197                              // 00000000BF28: 0B8B8B15
	v_mul_f32_e32 v198, v21, v198                              // 00000000BF2C: 0B8D8D15
	v_mul_f32_e32 v199, v21, v199                              // 00000000BF30: 0B8F8F15
	v_mul_f32_e32 v200, v24, v200                              // 00000000BF34: 0B919118
	v_mul_f32_e32 v201, v24, v201                              // 00000000BF38: 0B939318
	v_mul_f32_e32 v202, v24, v202                              // 00000000BF3C: 0B959518
	v_mul_f32_e32 v203, v24, v203                              // 00000000BF40: 0B979718
	v_mul_f32_dpp v200, v12, v200 row_newbcast:4 row_mask:0xf bank_mask:0xf// 00000000BF44: 0B9190FA FF01540C
	v_mul_f32_dpp v201, v12, v201 row_newbcast:5 row_mask:0xf bank_mask:0xf// 00000000BF4C: 0B9392FA FF01550C
	v_mul_f32_dpp v202, v12, v202 row_newbcast:6 row_mask:0xf bank_mask:0xf// 00000000BF54: 0B9594FA FF01560C
	v_mul_f32_dpp v203, v12, v203 row_newbcast:7 row_mask:0xf bank_mask:0xf// 00000000BF5C: 0B9796FA FF01570C
	v_mul_f32_e32 v200, v20, v200                              // 00000000BF64: 0B919114
	v_mul_f32_e32 v201, v20, v201                              // 00000000BF68: 0B939314
	v_mul_f32_e32 v202, v20, v202                              // 00000000BF6C: 0B959514
	v_mul_f32_e32 v203, v20, v203                              // 00000000BF70: 0B979714
	v_mul_f32_e32 v204, v25, v204                              // 00000000BF74: 0B999919
	v_mul_f32_e32 v205, v25, v205                              // 00000000BF78: 0B9B9B19
	v_mul_f32_e32 v206, v25, v206                              // 00000000BF7C: 0B9D9D19
	v_mul_f32_e32 v207, v25, v207                              // 00000000BF80: 0B9F9F19
	v_mul_f32_dpp v204, v12, v204 row_newbcast:4 row_mask:0xf bank_mask:0xf// 00000000BF84: 0B9998FA FF01540C
	v_mul_f32_dpp v205, v12, v205 row_newbcast:5 row_mask:0xf bank_mask:0xf// 00000000BF8C: 0B9B9AFA FF01550C
	v_mul_f32_dpp v206, v12, v206 row_newbcast:6 row_mask:0xf bank_mask:0xf// 00000000BF94: 0B9D9CFA FF01560C
	v_mul_f32_dpp v207, v12, v207 row_newbcast:7 row_mask:0xf bank_mask:0xf// 00000000BF9C: 0B9F9EFA FF01570C
	v_mul_f32_e32 v204, v21, v204                              // 00000000BFA4: 0B999915
	v_mul_f32_e32 v205, v21, v205                              // 00000000BFA8: 0B9B9B15
	v_mul_f32_e32 v206, v21, v206                              // 00000000BFAC: 0B9D9D15
	v_mul_f32_e32 v207, v21, v207                              // 00000000BFB0: 0B9F9F15
	v_mul_f32_e32 v208, v24, v208                              // 00000000BFB4: 0BA1A118
	v_mul_f32_e32 v209, v24, v209                              // 00000000BFB8: 0BA3A318
	v_mul_f32_e32 v210, v24, v210                              // 00000000BFBC: 0BA5A518
	v_mul_f32_e32 v211, v24, v211                              // 00000000BFC0: 0BA7A718
	v_mul_f32_dpp v208, v12, v208 row_newbcast:8 row_mask:0xf bank_mask:0xf// 00000000BFC4: 0BA1A0FA FF01580C
	v_mul_f32_dpp v209, v12, v209 row_newbcast:9 row_mask:0xf bank_mask:0xf// 00000000BFCC: 0BA3A2FA FF01590C
	v_mul_f32_dpp v210, v12, v210 row_newbcast:10 row_mask:0xf bank_mask:0xf// 00000000BFD4: 0BA5A4FA FF015A0C
	v_mul_f32_dpp v211, v12, v211 row_newbcast:11 row_mask:0xf bank_mask:0xf// 00000000BFDC: 0BA7A6FA FF015B0C
	v_mul_f32_e32 v208, v20, v208                              // 00000000BFE4: 0BA1A114
	v_mul_f32_e32 v209, v20, v209                              // 00000000BFE8: 0BA3A314
	v_mul_f32_e32 v210, v20, v210                              // 00000000BFEC: 0BA5A514
	v_mul_f32_e32 v211, v20, v211                              // 00000000BFF0: 0BA7A714
	v_mul_f32_e32 v212, v25, v212                              // 00000000BFF4: 0BA9A919
	v_mul_f32_e32 v213, v25, v213                              // 00000000BFF8: 0BABAB19
	v_mul_f32_e32 v214, v25, v214                              // 00000000BFFC: 0BADAD19
	v_mul_f32_e32 v215, v25, v215                              // 00000000C000: 0BAFAF19
	v_mul_f32_dpp v212, v12, v212 row_newbcast:8 row_mask:0xf bank_mask:0xf// 00000000C004: 0BA9A8FA FF01580C
	v_mul_f32_dpp v213, v12, v213 row_newbcast:9 row_mask:0xf bank_mask:0xf// 00000000C00C: 0BABAAFA FF01590C
	v_mul_f32_dpp v214, v12, v214 row_newbcast:10 row_mask:0xf bank_mask:0xf// 00000000C014: 0BADACFA FF015A0C
	v_mul_f32_dpp v215, v12, v215 row_newbcast:11 row_mask:0xf bank_mask:0xf// 00000000C01C: 0BAFAEFA FF015B0C
	v_mul_f32_e32 v212, v21, v212                              // 00000000C024: 0BA9A915
	v_mul_f32_e32 v213, v21, v213                              // 00000000C028: 0BABAB15
	v_mul_f32_e32 v214, v21, v214                              // 00000000C02C: 0BADAD15
	v_mul_f32_e32 v215, v21, v215                              // 00000000C030: 0BAFAF15
	v_mul_f32_e32 v216, v24, v216                              // 00000000C034: 0BB1B118
	v_mul_f32_e32 v217, v24, v217                              // 00000000C038: 0BB3B318
	v_mul_f32_e32 v218, v24, v218                              // 00000000C03C: 0BB5B518
	v_mul_f32_e32 v219, v24, v219                              // 00000000C040: 0BB7B718
	v_mul_f32_dpp v216, v12, v216 row_newbcast:12 row_mask:0xf bank_mask:0xf// 00000000C044: 0BB1B0FA FF015C0C
	v_mul_f32_dpp v217, v12, v217 row_newbcast:13 row_mask:0xf bank_mask:0xf// 00000000C04C: 0BB3B2FA FF015D0C
	v_mul_f32_dpp v218, v12, v218 row_newbcast:14 row_mask:0xf bank_mask:0xf// 00000000C054: 0BB5B4FA FF015E0C
	v_mul_f32_dpp v219, v12, v219 row_newbcast:15 row_mask:0xf bank_mask:0xf// 00000000C05C: 0BB7B6FA FF015F0C
	v_mul_f32_e32 v216, v20, v216                              // 00000000C064: 0BB1B114
	v_mul_f32_e32 v217, v20, v217                              // 00000000C068: 0BB3B314
	v_mul_f32_e32 v218, v20, v218                              // 00000000C06C: 0BB5B514
	v_mul_f32_e32 v219, v20, v219                              // 00000000C070: 0BB7B714
	v_mul_f32_e32 v220, v25, v220                              // 00000000C074: 0BB9B919
	v_mul_f32_e32 v221, v25, v221                              // 00000000C078: 0BBBBB19
	v_mul_f32_e32 v222, v25, v222                              // 00000000C07C: 0BBDBD19
	v_mul_f32_e32 v223, v25, v223                              // 00000000C080: 0BBFBF19
	v_mul_f32_dpp v220, v12, v220 row_newbcast:12 row_mask:0xf bank_mask:0xf// 00000000C084: 0BB9B8FA FF015C0C
	v_mul_f32_dpp v221, v12, v221 row_newbcast:13 row_mask:0xf bank_mask:0xf// 00000000C08C: 0BBBBAFA FF015D0C
	v_mul_f32_dpp v222, v12, v222 row_newbcast:14 row_mask:0xf bank_mask:0xf// 00000000C094: 0BBDBCFA FF015E0C
	v_mul_f32_dpp v223, v12, v223 row_newbcast:15 row_mask:0xf bank_mask:0xf// 00000000C09C: 0BBFBEFA FF015F0C
	v_mul_f32_e32 v220, v21, v220                              // 00000000C0A4: 0BB9B915
	v_mul_f32_e32 v221, v21, v221                              // 00000000C0A8: 0BBBBB15
	v_mul_f32_e32 v222, v21, v222                              // 00000000C0AC: 0BBDBD15
	v_mul_f32_e32 v223, v21, v223                              // 00000000C0B0: 0BBFBF15
	v_cmp_u_f32_e64 s[48:49], v192, v192                       // 00000000C0B4: D0480030 000381C0
	v_add3_u32 v46, v192, v49, 1                               // 00000000C0BC: D1FF002E 020663C0
	v_cndmask_b32_e64 v52, v46, v48, s[48:49]                  // 00000000C0C4: D1000034 00C2612E
	v_cmp_u_f32_e64 s[48:49], v193, v193                       // 00000000C0CC: D0480030 000383C1
	v_add3_u32 v46, v193, v49, 1                               // 00000000C0D4: D1FF002E 020663C1
	v_cndmask_b32_e64 v53, v46, v48, s[48:49]                  // 00000000C0DC: D1000035 00C2612E
	v_perm_b32 v192, v53, v52, s52                             // 00000000C0E4: D1ED00C0 00D26935
	v_cmp_u_f32_e64 s[48:49], v194, v194                       // 00000000C0EC: D0480030 000385C2
	v_add3_u32 v46, v194, v49, 1                               // 00000000C0F4: D1FF002E 020663C2
	v_cndmask_b32_e64 v52, v46, v48, s[48:49]                  // 00000000C0FC: D1000034 00C2612E
	v_cmp_u_f32_e64 s[48:49], v195, v195                       // 00000000C104: D0480030 000387C3
	v_add3_u32 v46, v195, v49, 1                               // 00000000C10C: D1FF002E 020663C3
	v_cndmask_b32_e64 v53, v46, v48, s[48:49]                  // 00000000C114: D1000035 00C2612E
	v_perm_b32 v193, v53, v52, s52                             // 00000000C11C: D1ED00C1 00D26935
	v_cmp_u_f32_e64 s[48:49], v196, v196                       // 00000000C124: D0480030 000389C4
	v_add3_u32 v46, v196, v49, 1                               // 00000000C12C: D1FF002E 020663C4
	v_cndmask_b32_e64 v52, v46, v48, s[48:49]                  // 00000000C134: D1000034 00C2612E
	v_cmp_u_f32_e64 s[48:49], v197, v197                       // 00000000C13C: D0480030 00038BC5
	v_add3_u32 v46, v197, v49, 1                               // 00000000C144: D1FF002E 020663C5
	v_cndmask_b32_e64 v53, v46, v48, s[48:49]                  // 00000000C14C: D1000035 00C2612E
	v_perm_b32 v194, v53, v52, s52                             // 00000000C154: D1ED00C2 00D26935
	v_cmp_u_f32_e64 s[48:49], v198, v198                       // 00000000C15C: D0480030 00038DC6
	v_add3_u32 v46, v198, v49, 1                               // 00000000C164: D1FF002E 020663C6
	v_cndmask_b32_e64 v52, v46, v48, s[48:49]                  // 00000000C16C: D1000034 00C2612E
	v_cmp_u_f32_e64 s[48:49], v199, v199                       // 00000000C174: D0480030 00038FC7
	v_add3_u32 v46, v199, v49, 1                               // 00000000C17C: D1FF002E 020663C7
	v_cndmask_b32_e64 v53, v46, v48, s[48:49]                  // 00000000C184: D1000035 00C2612E
	v_perm_b32 v195, v53, v52, s52                             // 00000000C18C: D1ED00C3 00D26935
	v_cmp_u_f32_e64 s[48:49], v200, v200                       // 00000000C194: D0480030 000391C8
	v_add3_u32 v46, v200, v49, 1                               // 00000000C19C: D1FF002E 020663C8
	v_cndmask_b32_e64 v52, v46, v48, s[48:49]                  // 00000000C1A4: D1000034 00C2612E
	v_cmp_u_f32_e64 s[48:49], v201, v201                       // 00000000C1AC: D0480030 000393C9
	v_add3_u32 v46, v201, v49, 1                               // 00000000C1B4: D1FF002E 020663C9
	v_cndmask_b32_e64 v53, v46, v48, s[48:49]                  // 00000000C1BC: D1000035 00C2612E
	v_perm_b32 v196, v53, v52, s52                             // 00000000C1C4: D1ED00C4 00D26935
	v_cmp_u_f32_e64 s[48:49], v202, v202                       // 00000000C1CC: D0480030 000395CA
	v_add3_u32 v46, v202, v49, 1                               // 00000000C1D4: D1FF002E 020663CA
	v_cndmask_b32_e64 v52, v46, v48, s[48:49]                  // 00000000C1DC: D1000034 00C2612E
	v_cmp_u_f32_e64 s[48:49], v203, v203                       // 00000000C1E4: D0480030 000397CB
	v_add3_u32 v46, v203, v49, 1                               // 00000000C1EC: D1FF002E 020663CB
	v_cndmask_b32_e64 v53, v46, v48, s[48:49]                  // 00000000C1F4: D1000035 00C2612E
	v_perm_b32 v197, v53, v52, s52                             // 00000000C1FC: D1ED00C5 00D26935
	v_cmp_u_f32_e64 s[48:49], v204, v204                       // 00000000C204: D0480030 000399CC
	v_add3_u32 v46, v204, v49, 1                               // 00000000C20C: D1FF002E 020663CC
	v_cndmask_b32_e64 v52, v46, v48, s[48:49]                  // 00000000C214: D1000034 00C2612E
	v_cmp_u_f32_e64 s[48:49], v205, v205                       // 00000000C21C: D0480030 00039BCD
	v_add3_u32 v46, v205, v49, 1                               // 00000000C224: D1FF002E 020663CD
	v_cndmask_b32_e64 v53, v46, v48, s[48:49]                  // 00000000C22C: D1000035 00C2612E
	v_perm_b32 v198, v53, v52, s52                             // 00000000C234: D1ED00C6 00D26935
	v_cmp_u_f32_e64 s[48:49], v206, v206                       // 00000000C23C: D0480030 00039DCE
	v_add3_u32 v46, v206, v49, 1                               // 00000000C244: D1FF002E 020663CE
	v_cndmask_b32_e64 v52, v46, v48, s[48:49]                  // 00000000C24C: D1000034 00C2612E
	v_cmp_u_f32_e64 s[48:49], v207, v207                       // 00000000C254: D0480030 00039FCF
	v_add3_u32 v46, v207, v49, 1                               // 00000000C25C: D1FF002E 020663CF
	v_cndmask_b32_e64 v53, v46, v48, s[48:49]                  // 00000000C264: D1000035 00C2612E
	v_perm_b32 v199, v53, v52, s52                             // 00000000C26C: D1ED00C7 00D26935
	v_cmp_u_f32_e64 s[48:49], v208, v208                       // 00000000C274: D0480030 0003A1D0
	v_add3_u32 v46, v208, v49, 1                               // 00000000C27C: D1FF002E 020663D0
	v_cndmask_b32_e64 v52, v46, v48, s[48:49]                  // 00000000C284: D1000034 00C2612E
	v_cmp_u_f32_e64 s[48:49], v209, v209                       // 00000000C28C: D0480030 0003A3D1
	v_add3_u32 v46, v209, v49, 1                               // 00000000C294: D1FF002E 020663D1
	v_cndmask_b32_e64 v53, v46, v48, s[48:49]                  // 00000000C29C: D1000035 00C2612E
	v_perm_b32 v200, v53, v52, s52                             // 00000000C2A4: D1ED00C8 00D26935
	v_cmp_u_f32_e64 s[48:49], v210, v210                       // 00000000C2AC: D0480030 0003A5D2
	v_add3_u32 v46, v210, v49, 1                               // 00000000C2B4: D1FF002E 020663D2
	v_cndmask_b32_e64 v52, v46, v48, s[48:49]                  // 00000000C2BC: D1000034 00C2612E
	v_cmp_u_f32_e64 s[48:49], v211, v211                       // 00000000C2C4: D0480030 0003A7D3
	v_add3_u32 v46, v211, v49, 1                               // 00000000C2CC: D1FF002E 020663D3
	v_cndmask_b32_e64 v53, v46, v48, s[48:49]                  // 00000000C2D4: D1000035 00C2612E
	v_perm_b32 v201, v53, v52, s52                             // 00000000C2DC: D1ED00C9 00D26935
	v_cmp_u_f32_e64 s[48:49], v212, v212                       // 00000000C2E4: D0480030 0003A9D4
	v_add3_u32 v46, v212, v49, 1                               // 00000000C2EC: D1FF002E 020663D4
	v_cndmask_b32_e64 v52, v46, v48, s[48:49]                  // 00000000C2F4: D1000034 00C2612E
	v_cmp_u_f32_e64 s[48:49], v213, v213                       // 00000000C2FC: D0480030 0003ABD5
	v_add3_u32 v46, v213, v49, 1                               // 00000000C304: D1FF002E 020663D5
	v_cndmask_b32_e64 v53, v46, v48, s[48:49]                  // 00000000C30C: D1000035 00C2612E
	v_perm_b32 v202, v53, v52, s52                             // 00000000C314: D1ED00CA 00D26935
	v_cmp_u_f32_e64 s[48:49], v214, v214                       // 00000000C31C: D0480030 0003ADD6
	v_add3_u32 v46, v214, v49, 1                               // 00000000C324: D1FF002E 020663D6
	v_cndmask_b32_e64 v52, v46, v48, s[48:49]                  // 00000000C32C: D1000034 00C2612E
	v_cmp_u_f32_e64 s[48:49], v215, v215                       // 00000000C334: D0480030 0003AFD7
	v_add3_u32 v46, v215, v49, 1                               // 00000000C33C: D1FF002E 020663D7
	v_cndmask_b32_e64 v53, v46, v48, s[48:49]                  // 00000000C344: D1000035 00C2612E
	v_perm_b32 v203, v53, v52, s52                             // 00000000C34C: D1ED00CB 00D26935
	v_cmp_u_f32_e64 s[48:49], v216, v216                       // 00000000C354: D0480030 0003B1D8
	v_add3_u32 v46, v216, v49, 1                               // 00000000C35C: D1FF002E 020663D8
	v_cndmask_b32_e64 v52, v46, v48, s[48:49]                  // 00000000C364: D1000034 00C2612E
	v_cmp_u_f32_e64 s[48:49], v217, v217                       // 00000000C36C: D0480030 0003B3D9
	v_add3_u32 v46, v217, v49, 1                               // 00000000C374: D1FF002E 020663D9
	v_cndmask_b32_e64 v53, v46, v48, s[48:49]                  // 00000000C37C: D1000035 00C2612E
	v_perm_b32 v204, v53, v52, s52                             // 00000000C384: D1ED00CC 00D26935
	v_cmp_u_f32_e64 s[48:49], v218, v218                       // 00000000C38C: D0480030 0003B5DA
	v_add3_u32 v46, v218, v49, 1                               // 00000000C394: D1FF002E 020663DA
	v_cndmask_b32_e64 v52, v46, v48, s[48:49]                  // 00000000C39C: D1000034 00C2612E
	v_cmp_u_f32_e64 s[48:49], v219, v219                       // 00000000C3A4: D0480030 0003B7DB
	v_add3_u32 v46, v219, v49, 1                               // 00000000C3AC: D1FF002E 020663DB
	v_cndmask_b32_e64 v53, v46, v48, s[48:49]                  // 00000000C3B4: D1000035 00C2612E
	v_perm_b32 v205, v53, v52, s52                             // 00000000C3BC: D1ED00CD 00D26935
	v_cmp_u_f32_e64 s[48:49], v220, v220                       // 00000000C3C4: D0480030 0003B9DC
	v_add3_u32 v46, v220, v49, 1                               // 00000000C3CC: D1FF002E 020663DC
	v_cndmask_b32_e64 v52, v46, v48, s[48:49]                  // 00000000C3D4: D1000034 00C2612E
	v_cmp_u_f32_e64 s[48:49], v221, v221                       // 00000000C3DC: D0480030 0003BBDD
	v_add3_u32 v46, v221, v49, 1                               // 00000000C3E4: D1FF002E 020663DD
	v_cndmask_b32_e64 v53, v46, v48, s[48:49]                  // 00000000C3EC: D1000035 00C2612E
	v_perm_b32 v206, v53, v52, s52                             // 00000000C3F4: D1ED00CE 00D26935
	v_cmp_u_f32_e64 s[48:49], v222, v222                       // 00000000C3FC: D0480030 0003BDDE
	v_add3_u32 v46, v222, v49, 1                               // 00000000C404: D1FF002E 020663DE
	v_cndmask_b32_e64 v52, v46, v48, s[48:49]                  // 00000000C40C: D1000034 00C2612E
	v_cmp_u_f32_e64 s[48:49], v223, v223                       // 00000000C414: D0480030 0003BFDF
	v_add3_u32 v46, v223, v49, 1                               // 00000000C41C: D1FF002E 020663DF
	v_cndmask_b32_e64 v53, v46, v48, s[48:49]                  // 00000000C424: D1000035 00C2612E
	v_perm_b32 v207, v53, v52, s52                             // 00000000C42C: D1ED00CF 00D26935
	ds_write_b64 v3, v[192:193] offset:35072                   // 00000000C434: D89A8900 0000C003
	ds_write_b64 v3, v[194:195] offset:43776                   // 00000000C43C: D89AAB00 0000C203
	ds_write_b64 v3, v[196:197] offset:37248                   // 00000000C444: D89A9180 0000C403
	ds_write_b64 v3, v[198:199] offset:45952                   // 00000000C44C: D89AB380 0000C603
	ds_write_b64 v3, v[200:201] offset:39424                   // 00000000C454: D89A9A00 0000C803
	ds_write_b64 v3, v[202:203] offset:48128                   // 00000000C45C: D89ABC00 0000CA03
	ds_write_b64 v3, v[204:205] offset:41600                   // 00000000C464: D89AA280 0000CC03
	ds_write_b64 v3, v[206:207] offset:50304                   // 00000000C46C: D89AC480 0000CE03
	s_waitcnt lgkmcnt(0)                                       // 00000000C474: BF8CC07F
	s_barrier                                                  // 00000000C478: BF8A0000
	ds_read_b32 v64, v4 offset:35072                           // 00000000C47C: D86C8900 40000004
	ds_read_b32 v65, v4 offset:39424                           // 00000000C484: D86C9A00 41000004
	ds_read_b32 v66, v4 offset:35104                           // 00000000C48C: D86C8920 42000004
	ds_read_b32 v67, v4 offset:39456                           // 00000000C494: D86C9A20 43000004
	ds_read_b32 v68, v4 offset:35136                           // 00000000C49C: D86C8940 44000004
	ds_read_b32 v69, v4 offset:39488                           // 00000000C4A4: D86C9A40 45000004
	ds_read_b32 v70, v4 offset:35168                           // 00000000C4AC: D86C8960 46000004
	ds_read_b32 v71, v4 offset:39520                           // 00000000C4B4: D86C9A60 47000004
	ds_read_b32 v72, v4 offset:43776                           // 00000000C4BC: D86CAB00 48000004
	ds_read_b32 v73, v4 offset:48128                           // 00000000C4C4: D86CBC00 49000004
	ds_read_b32 v74, v4 offset:43808                           // 00000000C4CC: D86CAB20 4A000004
	ds_read_b32 v75, v4 offset:48160                           // 00000000C4D4: D86CBC20 4B000004
	ds_read_b32 v76, v4 offset:43840                           // 00000000C4DC: D86CAB40 4C000004
	ds_read_b32 v77, v4 offset:48192                           // 00000000C4E4: D86CBC40 4D000004
	ds_read_b32 v78, v4 offset:43872                           // 00000000C4EC: D86CAB60 4E000004
	ds_read_b32 v79, v4 offset:48224                           // 00000000C4F4: D86CBC60 4F000004
	s_waitcnt lgkmcnt(0)                                       // 00000000C4FC: BF8CC07F
	s_mov_b64 exec, s[20:21]                                   // 00000000C500: BEFE0114
	global_atomic_pk_add_bf16 v80, v64, s[8:9]                 // 00000000C504: DD488000 00084050
	s_mov_b64 exec, s[36:37]                                   // 00000000C50C: BEFE0124
	s_mov_b64 exec, s[20:21]                                   // 00000000C510: BEFE0114
	global_atomic_pk_add_bf16 v80, v65, s[8:9] offset:256      // 00000000C514: DD488100 00084150
	s_mov_b64 exec, s[36:37]                                   // 00000000C51C: BEFE0124
	s_mov_b64 exec, s[22:23]                                   // 00000000C520: BEFE0116
	global_atomic_pk_add_bf16 v82, v66, s[8:9]                 // 00000000C524: DD488000 00084252
	s_mov_b64 exec, s[36:37]                                   // 00000000C52C: BEFE0124
	s_mov_b64 exec, s[22:23]                                   // 00000000C530: BEFE0116
	global_atomic_pk_add_bf16 v82, v67, s[8:9] offset:256      // 00000000C534: DD488100 00084352
	s_mov_b64 exec, s[36:37]                                   // 00000000C53C: BEFE0124
	s_mov_b64 exec, s[24:25]                                   // 00000000C540: BEFE0118
	global_atomic_pk_add_bf16 v84, v68, s[8:9]                 // 00000000C544: DD488000 00084454
	s_mov_b64 exec, s[36:37]                                   // 00000000C54C: BEFE0124
	s_mov_b64 exec, s[24:25]                                   // 00000000C550: BEFE0118
	global_atomic_pk_add_bf16 v84, v69, s[8:9] offset:256      // 00000000C554: DD488100 00084554
	s_mov_b64 exec, s[36:37]                                   // 00000000C55C: BEFE0124
	s_mov_b64 exec, s[26:27]                                   // 00000000C560: BEFE011A
	global_atomic_pk_add_bf16 v86, v70, s[8:9]                 // 00000000C564: DD488000 00084656
	s_mov_b64 exec, s[36:37]                                   // 00000000C56C: BEFE0124
	s_mov_b64 exec, s[26:27]                                   // 00000000C570: BEFE011A
	global_atomic_pk_add_bf16 v86, v71, s[8:9] offset:256      // 00000000C574: DD488100 00084756
	s_mov_b64 exec, s[36:37]                                   // 00000000C57C: BEFE0124
	s_mov_b64 exec, s[28:29]                                   // 00000000C580: BEFE011C
	global_atomic_pk_add_bf16 v88, v72, s[8:9]                 // 00000000C584: DD488000 00084858
	s_mov_b64 exec, s[36:37]                                   // 00000000C58C: BEFE0124
	s_mov_b64 exec, s[28:29]                                   // 00000000C590: BEFE011C
	global_atomic_pk_add_bf16 v88, v73, s[8:9] offset:256      // 00000000C594: DD488100 00084958
	s_mov_b64 exec, s[36:37]                                   // 00000000C59C: BEFE0124
	s_mov_b64 exec, s[30:31]                                   // 00000000C5A0: BEFE011E
	global_atomic_pk_add_bf16 v90, v74, s[8:9]                 // 00000000C5A4: DD488000 00084A5A
	s_mov_b64 exec, s[36:37]                                   // 00000000C5AC: BEFE0124
	s_mov_b64 exec, s[30:31]                                   // 00000000C5B0: BEFE011E
	global_atomic_pk_add_bf16 v90, v75, s[8:9] offset:256      // 00000000C5B4: DD488100 00084B5A
	s_mov_b64 exec, s[36:37]                                   // 00000000C5BC: BEFE0124
	s_mov_b64 exec, s[32:33]                                   // 00000000C5C0: BEFE0120
	global_atomic_pk_add_bf16 v92, v76, s[8:9]                 // 00000000C5C4: DD488000 00084C5C
	s_mov_b64 exec, s[36:37]                                   // 00000000C5CC: BEFE0124
	s_mov_b64 exec, s[32:33]                                   // 00000000C5D0: BEFE0120
	global_atomic_pk_add_bf16 v92, v77, s[8:9] offset:256      // 00000000C5D4: DD488100 00084D5C
	s_mov_b64 exec, s[36:37]                                   // 00000000C5DC: BEFE0124
	s_mov_b64 exec, s[34:35]                                   // 00000000C5E0: BEFE0122
	global_atomic_pk_add_bf16 v94, v78, s[8:9]                 // 00000000C5E4: DD488000 00084E5E
	s_mov_b64 exec, s[36:37]                                   // 00000000C5EC: BEFE0124
	s_mov_b64 exec, s[34:35]                                   // 00000000C5F0: BEFE0122
	global_atomic_pk_add_bf16 v94, v79, s[8:9] offset:256      // 00000000C5F4: DD488100 00084F5E
	s_mov_b64 exec, s[36:37]                                   // 00000000C5FC: BEFE0124
	s_add_u32 s8, s59, s8                                      // 00000000C600: 8008083B
	s_addc_u32 s9, 0, s9                                       // 00000000C604: 82090980
	s_addk_i32 s80, 0x100                                      // 00000000C608: B7500100
	s_cmp_lt_i32 s80, s81                                      // 00000000C60C: BF045150
	s_cbranch_scc0 label_1608                                  // 00000000C610: BF84F003
	s_waitcnt vmcnt(45)                                        // 00000000C614: BF8C8F7D
	s_barrier                                                  // 00000000C618: BF8A0000
	v_mfma_f32_16x16x32_fp8_fp8 v[224:227], a[128:129], v[128:129], 0// 00000000C61C: D3F300E0 0A030180
	buffer_load_dwordx4 a[0:3], v42, s[12:15], 0 offen         // 00000000C624: E05C1000 8083002A
	v_mfma_f32_16x16x32_fp8_fp8 v[224:227], a[130:131], v[130:131], v[224:227]// 00000000C62C: D3F300E0 0F830582
	v_mfma_f32_16x16x32_fp8_fp8 v[228:231], a[128:129], v[160:161], 0// 00000000C634: D3F300E4 0A034180
	v_mfma_f32_16x16x32_fp8_fp8 v[228:231], a[130:131], v[162:163], v[228:231]// 00000000C63C: D3F300E4 0F934582
	v_mfma_f32_16x16x32_fp8_fp8 v[232:235], a[132:133], v[128:129], 0// 00000000C644: D3F300E8 0A030184
	buffer_load_dwordx4 a[4:7], v43, s[12:15], 0 offen         // 00000000C64C: E05C1000 8083042B
	v_mfma_f32_16x16x32_fp8_fp8 v[232:235], a[134:135], v[130:131], v[232:235]// 00000000C654: D3F300E8 0FA30586
	v_mfma_f32_16x16x32_fp8_fp8 v[236:239], a[132:133], v[160:161], 0// 00000000C65C: D3F300EC 0A034184
	v_mfma_f32_16x16x32_fp8_fp8 v[236:239], a[134:135], v[162:163], v[236:239]// 00000000C664: D3F300EC 0FB34586
	v_mfma_f32_16x16x32_fp8_fp8 v[240:243], a[136:137], v[128:129], 0// 00000000C66C: D3F300F0 0A030188
	buffer_load_dwordx4 a[8:11], v44, s[12:15], 0 offen        // 00000000C674: E05C1000 8083082C
	v_mfma_f32_16x16x32_fp8_fp8 v[240:243], a[138:139], v[130:131], v[240:243]// 00000000C67C: D3F300F0 0FC3058A
	v_mfma_f32_16x16x32_fp8_fp8 v[244:247], a[136:137], v[160:161], 0// 00000000C684: D3F300F4 0A034188
	v_mfma_f32_16x16x32_fp8_fp8 v[244:247], a[138:139], v[162:163], v[244:247]// 00000000C68C: D3F300F4 0FD3458A
	v_mfma_f32_16x16x32_fp8_fp8 v[248:251], a[140:141], v[128:129], 0// 00000000C694: D3F300F8 0A03018C
	buffer_load_dwordx4 a[12:15], v45, s[12:15], 0 offen       // 00000000C69C: E05C1000 80830C2D
	s_add_u32 s12, s78, s12                                    // 00000000C6A4: 800C0C4E
	s_addc_u32 s13, 0, s13                                     // 00000000C6A8: 820D0D80
	v_mfma_f32_16x16x32_fp8_fp8 v[248:251], a[142:143], v[130:131], v[248:251]// 00000000C6AC: D3F300F8 0FE3058E
	v_mfma_f32_16x16x32_fp8_fp8 v[252:255], a[140:141], v[160:161], 0// 00000000C6B4: D3F300FC 0A03418C
	v_mfma_f32_16x16x32_fp8_fp8 v[252:255], a[142:143], v[162:163], v[252:255]// 00000000C6BC: D3F300FC 0FF3458E
	s_waitcnt vmcnt(45)                                        // 00000000C6C4: BF8C8F7D
	v_mfma_f32_16x16x32_fp8_fp8 v[224:227], a[144:145], v[132:133], v[224:227]// 00000000C6C8: D3F300E0 0F830990
	buffer_load_dwordx4 a[16:19], v42, s[12:15], 0 offen       // 00000000C6D0: E05C1000 8083102A
	v_mfma_f32_16x16x32_fp8_fp8 v[224:227], a[146:147], v[134:135], v[224:227]// 00000000C6D8: D3F300E0 0F830D92
	v_mfma_f32_16x16x32_fp8_fp8 v[228:231], a[144:145], v[164:165], v[228:231]// 00000000C6E0: D3F300E4 0F934990
	v_mfma_f32_16x16x32_fp8_fp8 v[228:231], a[146:147], v[166:167], v[228:231]// 00000000C6E8: D3F300E4 0F934D92
	v_mfma_f32_16x16x32_fp8_fp8 v[232:235], a[148:149], v[132:133], v[232:235]// 00000000C6F0: D3F300E8 0FA30994
	buffer_load_dwordx4 a[20:23], v43, s[12:15], 0 offen       // 00000000C6F8: E05C1000 8083142B
	v_mfma_f32_16x16x32_fp8_fp8 v[232:235], a[150:151], v[134:135], v[232:235]// 00000000C700: D3F300E8 0FA30D96
	v_mfma_f32_16x16x32_fp8_fp8 v[236:239], a[148:149], v[164:165], v[236:239]// 00000000C708: D3F300EC 0FB34994
	v_mfma_f32_16x16x32_fp8_fp8 v[236:239], a[150:151], v[166:167], v[236:239]// 00000000C710: D3F300EC 0FB34D96
	v_mfma_f32_16x16x32_fp8_fp8 v[240:243], a[152:153], v[132:133], v[240:243]// 00000000C718: D3F300F0 0FC30998
	buffer_load_dwordx4 a[24:27], v44, s[12:15], 0 offen       // 00000000C720: E05C1000 8083182C
	v_mfma_f32_16x16x32_fp8_fp8 v[240:243], a[154:155], v[134:135], v[240:243]// 00000000C728: D3F300F0 0FC30D9A
	v_mfma_f32_16x16x32_fp8_fp8 v[244:247], a[152:153], v[164:165], v[244:247]// 00000000C730: D3F300F4 0FD34998
	v_mfma_f32_16x16x32_fp8_fp8 v[244:247], a[154:155], v[166:167], v[244:247]// 00000000C738: D3F300F4 0FD34D9A
	v_mfma_f32_16x16x32_fp8_fp8 v[248:251], a[156:157], v[132:133], v[248:251]// 00000000C740: D3F300F8 0FE3099C
	buffer_load_dwordx4 a[28:31], v45, s[12:15], 0 offen       // 00000000C748: E05C1000 80831C2D
	s_add_u32 s12, s78, s12                                    // 00000000C750: 800C0C4E
	s_addc_u32 s13, 0, s13                                     // 00000000C754: 820D0D80
	v_mfma_f32_16x16x32_fp8_fp8 v[248:251], a[158:159], v[134:135], v[248:251]// 00000000C758: D3F300F8 0FE30D9E
	v_mfma_f32_16x16x32_fp8_fp8 v[252:255], a[156:157], v[164:165], v[252:255]// 00000000C760: D3F300FC 0FF3499C
	v_mfma_f32_16x16x32_fp8_fp8 v[252:255], a[158:159], v[166:167], v[252:255]// 00000000C768: D3F300FC 0FF34D9E
	s_waitcnt vmcnt(45)                                        // 00000000C770: BF8C8F7D
	v_mfma_f32_16x16x32_fp8_fp8 v[224:227], a[160:161], v[136:137], v[224:227]// 00000000C774: D3F300E0 0F8311A0
	buffer_load_dwordx4 a[32:35], v42, s[12:15], 0 offen       // 00000000C77C: E05C1000 8083202A
	v_mfma_f32_16x16x32_fp8_fp8 v[224:227], a[162:163], v[138:139], v[224:227]// 00000000C784: D3F300E0 0F8315A2
	v_mfma_f32_16x16x32_fp8_fp8 v[228:231], a[160:161], v[168:169], v[228:231]// 00000000C78C: D3F300E4 0F9351A0
	v_mfma_f32_16x16x32_fp8_fp8 v[228:231], a[162:163], v[170:171], v[228:231]// 00000000C794: D3F300E4 0F9355A2
	v_mfma_f32_16x16x32_fp8_fp8 v[232:235], a[164:165], v[136:137], v[232:235]// 00000000C79C: D3F300E8 0FA311A4
	buffer_load_dwordx4 a[36:39], v43, s[12:15], 0 offen       // 00000000C7A4: E05C1000 8083242B
	v_mfma_f32_16x16x32_fp8_fp8 v[232:235], a[166:167], v[138:139], v[232:235]// 00000000C7AC: D3F300E8 0FA315A6
	v_mfma_f32_16x16x32_fp8_fp8 v[236:239], a[164:165], v[168:169], v[236:239]// 00000000C7B4: D3F300EC 0FB351A4
	v_mfma_f32_16x16x32_fp8_fp8 v[236:239], a[166:167], v[170:171], v[236:239]// 00000000C7BC: D3F300EC 0FB355A6
	v_mfma_f32_16x16x32_fp8_fp8 v[240:243], a[168:169], v[136:137], v[240:243]// 00000000C7C4: D3F300F0 0FC311A8
	buffer_load_dwordx4 a[40:43], v44, s[12:15], 0 offen       // 00000000C7CC: E05C1000 8083282C
	v_mfma_f32_16x16x32_fp8_fp8 v[240:243], a[170:171], v[138:139], v[240:243]// 00000000C7D4: D3F300F0 0FC315AA
	v_mfma_f32_16x16x32_fp8_fp8 v[244:247], a[168:169], v[168:169], v[244:247]// 00000000C7DC: D3F300F4 0FD351A8
	v_mfma_f32_16x16x32_fp8_fp8 v[244:247], a[170:171], v[170:171], v[244:247]// 00000000C7E4: D3F300F4 0FD355AA
	v_mfma_f32_16x16x32_fp8_fp8 v[248:251], a[172:173], v[136:137], v[248:251]// 00000000C7EC: D3F300F8 0FE311AC
	buffer_load_dwordx4 a[44:47], v45, s[12:15], 0 offen       // 00000000C7F4: E05C1000 80832C2D
	s_add_u32 s12, s78, s12                                    // 00000000C7FC: 800C0C4E
	s_addc_u32 s13, 0, s13                                     // 00000000C800: 820D0D80
	v_mfma_f32_16x16x32_fp8_fp8 v[248:251], a[174:175], v[138:139], v[248:251]// 00000000C804: D3F300F8 0FE315AE
	v_mfma_f32_16x16x32_fp8_fp8 v[252:255], a[172:173], v[168:169], v[252:255]// 00000000C80C: D3F300FC 0FF351AC
	v_mfma_f32_16x16x32_fp8_fp8 v[252:255], a[174:175], v[170:171], v[252:255]// 00000000C814: D3F300FC 0FF355AE
	s_waitcnt vmcnt(45)                                        // 00000000C81C: BF8C8F7D
	v_mfma_f32_16x16x32_fp8_fp8 v[224:227], a[176:177], v[140:141], v[224:227]// 00000000C820: D3F300E0 0F8319B0
	buffer_load_dwordx4 a[48:51], v42, s[12:15], 0 offen       // 00000000C828: E05C1000 8083302A
	v_mfma_f32_16x16x32_fp8_fp8 v[224:227], a[178:179], v[142:143], v[224:227]// 00000000C830: D3F300E0 0F831DB2
	v_mfma_f32_16x16x32_fp8_fp8 v[228:231], a[176:177], v[172:173], v[228:231]// 00000000C838: D3F300E4 0F9359B0
	v_mfma_f32_16x16x32_fp8_fp8 v[228:231], a[178:179], v[174:175], v[228:231]// 00000000C840: D3F300E4 0F935DB2
	v_mfma_f32_16x16x32_fp8_fp8 v[232:235], a[180:181], v[140:141], v[232:235]// 00000000C848: D3F300E8 0FA319B4
	buffer_load_dwordx4 a[52:55], v43, s[12:15], 0 offen       // 00000000C850: E05C1000 8083342B
	v_mfma_f32_16x16x32_fp8_fp8 v[232:235], a[182:183], v[142:143], v[232:235]// 00000000C858: D3F300E8 0FA31DB6
	v_mfma_f32_16x16x32_fp8_fp8 v[236:239], a[180:181], v[172:173], v[236:239]// 00000000C860: D3F300EC 0FB359B4
	v_mfma_f32_16x16x32_fp8_fp8 v[236:239], a[182:183], v[174:175], v[236:239]// 00000000C868: D3F300EC 0FB35DB6
	v_mfma_f32_16x16x32_fp8_fp8 v[240:243], a[184:185], v[140:141], v[240:243]// 00000000C870: D3F300F0 0FC319B8
	buffer_load_dwordx4 a[56:59], v44, s[12:15], 0 offen       // 00000000C878: E05C1000 8083382C
	v_mfma_f32_16x16x32_fp8_fp8 v[240:243], a[186:187], v[142:143], v[240:243]// 00000000C880: D3F300F0 0FC31DBA
	v_mfma_f32_16x16x32_fp8_fp8 v[244:247], a[184:185], v[172:173], v[244:247]// 00000000C888: D3F300F4 0FD359B8
	v_mfma_f32_16x16x32_fp8_fp8 v[244:247], a[186:187], v[174:175], v[244:247]// 00000000C890: D3F300F4 0FD35DBA
	v_mfma_f32_16x16x32_fp8_fp8 v[248:251], a[188:189], v[140:141], v[248:251]// 00000000C898: D3F300F8 0FE319BC
	buffer_load_dwordx4 a[60:63], v45, s[12:15], 0 offen       // 00000000C8A0: E05C1000 80833C2D
	s_add_u32 s12, s78, s12                                    // 00000000C8A8: 800C0C4E
	s_addc_u32 s13, 0, s13                                     // 00000000C8AC: 820D0D80
	v_mfma_f32_16x16x32_fp8_fp8 v[248:251], a[190:191], v[142:143], v[248:251]// 00000000C8B0: D3F300F8 0FE31DBE
	v_mfma_f32_16x16x32_fp8_fp8 v[252:255], a[188:189], v[172:173], v[252:255]// 00000000C8B8: D3F300FC 0FF359BC
	v_mfma_f32_16x16x32_fp8_fp8 v[252:255], a[190:191], v[174:175], v[252:255]// 00000000C8C0: D3F300FC 0FF35DBE
	s_waitcnt vmcnt(45)                                        // 00000000C8C8: BF8C8F7D
	v_mfma_f32_16x16x32_fp8_fp8 v[224:227], a[192:193], v[144:145], v[224:227]// 00000000C8CC: D3F300E0 0F8321C0
	buffer_load_dwordx4 a[64:67], v42, s[12:15], 0 offen       // 00000000C8D4: E05C1000 8083402A
	v_mfma_f32_16x16x32_fp8_fp8 v[224:227], a[194:195], v[146:147], v[224:227]// 00000000C8DC: D3F300E0 0F8325C2
	v_mfma_f32_16x16x32_fp8_fp8 v[228:231], a[192:193], v[176:177], v[228:231]// 00000000C8E4: D3F300E4 0F9361C0
	v_mfma_f32_16x16x32_fp8_fp8 v[228:231], a[194:195], v[178:179], v[228:231]// 00000000C8EC: D3F300E4 0F9365C2
	v_mfma_f32_16x16x32_fp8_fp8 v[232:235], a[196:197], v[144:145], v[232:235]// 00000000C8F4: D3F300E8 0FA321C4
	buffer_load_dwordx4 a[68:71], v43, s[12:15], 0 offen       // 00000000C8FC: E05C1000 8083442B
	v_mfma_f32_16x16x32_fp8_fp8 v[232:235], a[198:199], v[146:147], v[232:235]// 00000000C904: D3F300E8 0FA325C6
	v_mfma_f32_16x16x32_fp8_fp8 v[236:239], a[196:197], v[176:177], v[236:239]// 00000000C90C: D3F300EC 0FB361C4
	v_mfma_f32_16x16x32_fp8_fp8 v[236:239], a[198:199], v[178:179], v[236:239]// 00000000C914: D3F300EC 0FB365C6
	v_mfma_f32_16x16x32_fp8_fp8 v[240:243], a[200:201], v[144:145], v[240:243]// 00000000C91C: D3F300F0 0FC321C8
	buffer_load_dwordx4 a[72:75], v44, s[12:15], 0 offen       // 00000000C924: E05C1000 8083482C
	v_mfma_f32_16x16x32_fp8_fp8 v[240:243], a[202:203], v[146:147], v[240:243]// 00000000C92C: D3F300F0 0FC325CA
	v_mfma_f32_16x16x32_fp8_fp8 v[244:247], a[200:201], v[176:177], v[244:247]// 00000000C934: D3F300F4 0FD361C8
	v_mfma_f32_16x16x32_fp8_fp8 v[244:247], a[202:203], v[178:179], v[244:247]// 00000000C93C: D3F300F4 0FD365CA
	v_mfma_f32_16x16x32_fp8_fp8 v[248:251], a[204:205], v[144:145], v[248:251]// 00000000C944: D3F300F8 0FE321CC
	buffer_load_dwordx4 a[76:79], v45, s[12:15], 0 offen       // 00000000C94C: E05C1000 80834C2D
	s_add_u32 s12, s78, s12                                    // 00000000C954: 800C0C4E
	s_addc_u32 s13, 0, s13                                     // 00000000C958: 820D0D80
	v_mfma_f32_16x16x32_fp8_fp8 v[248:251], a[206:207], v[146:147], v[248:251]// 00000000C95C: D3F300F8 0FE325CE
	v_mfma_f32_16x16x32_fp8_fp8 v[252:255], a[204:205], v[176:177], v[252:255]// 00000000C964: D3F300FC 0FF361CC
	v_mfma_f32_16x16x32_fp8_fp8 v[252:255], a[206:207], v[178:179], v[252:255]// 00000000C96C: D3F300FC 0FF365CE
	s_waitcnt vmcnt(45)                                        // 00000000C974: BF8C8F7D
	v_mfma_f32_16x16x32_fp8_fp8 v[224:227], a[208:209], v[148:149], v[224:227]// 00000000C978: D3F300E0 0F8329D0
	buffer_load_dwordx4 a[80:83], v42, s[12:15], 0 offen       // 00000000C980: E05C1000 8083502A
	v_mfma_f32_16x16x32_fp8_fp8 v[224:227], a[210:211], v[150:151], v[224:227]// 00000000C988: D3F300E0 0F832DD2
	v_mfma_f32_16x16x32_fp8_fp8 v[228:231], a[208:209], v[180:181], v[228:231]// 00000000C990: D3F300E4 0F9369D0
	v_mfma_f32_16x16x32_fp8_fp8 v[228:231], a[210:211], v[182:183], v[228:231]// 00000000C998: D3F300E4 0F936DD2
	v_mfma_f32_16x16x32_fp8_fp8 v[232:235], a[212:213], v[148:149], v[232:235]// 00000000C9A0: D3F300E8 0FA329D4
	buffer_load_dwordx4 a[84:87], v43, s[12:15], 0 offen       // 00000000C9A8: E05C1000 8083542B
	v_mfma_f32_16x16x32_fp8_fp8 v[232:235], a[214:215], v[150:151], v[232:235]// 00000000C9B0: D3F300E8 0FA32DD6
	v_mfma_f32_16x16x32_fp8_fp8 v[236:239], a[212:213], v[180:181], v[236:239]// 00000000C9B8: D3F300EC 0FB369D4
	v_mfma_f32_16x16x32_fp8_fp8 v[236:239], a[214:215], v[182:183], v[236:239]// 00000000C9C0: D3F300EC 0FB36DD6
	v_mfma_f32_16x16x32_fp8_fp8 v[240:243], a[216:217], v[148:149], v[240:243]// 00000000C9C8: D3F300F0 0FC329D8
	buffer_load_dwordx4 a[88:91], v44, s[12:15], 0 offen       // 00000000C9D0: E05C1000 8083582C
	v_mfma_f32_16x16x32_fp8_fp8 v[240:243], a[218:219], v[150:151], v[240:243]// 00000000C9D8: D3F300F0 0FC32DDA
	v_mfma_f32_16x16x32_fp8_fp8 v[244:247], a[216:217], v[180:181], v[244:247]// 00000000C9E0: D3F300F4 0FD369D8
	v_mfma_f32_16x16x32_fp8_fp8 v[244:247], a[218:219], v[182:183], v[244:247]// 00000000C9E8: D3F300F4 0FD36DDA
	v_mfma_f32_16x16x32_fp8_fp8 v[248:251], a[220:221], v[148:149], v[248:251]// 00000000C9F0: D3F300F8 0FE329DC
	buffer_load_dwordx4 a[92:95], v45, s[12:15], 0 offen       // 00000000C9F8: E05C1000 80835C2D
	s_add_u32 s12, s78, s12                                    // 00000000CA00: 800C0C4E
	s_addc_u32 s13, 0, s13                                     // 00000000CA04: 820D0D80
	v_mfma_f32_16x16x32_fp8_fp8 v[248:251], a[222:223], v[150:151], v[248:251]// 00000000CA08: D3F300F8 0FE32DDE
	v_mfma_f32_16x16x32_fp8_fp8 v[252:255], a[220:221], v[180:181], v[252:255]// 00000000CA10: D3F300FC 0FF369DC
	v_mfma_f32_16x16x32_fp8_fp8 v[252:255], a[222:223], v[182:183], v[252:255]// 00000000CA18: D3F300FC 0FF36DDE
	s_waitcnt vmcnt(45)                                        // 00000000CA20: BF8C8F7D
	v_mfma_f32_16x16x32_fp8_fp8 v[224:227], a[224:225], v[152:153], v[224:227]// 00000000CA24: D3F300E0 0F8331E0
	buffer_load_dwordx4 a[96:99], v42, s[12:15], 0 offen       // 00000000CA2C: E05C1000 8083602A
	v_mfma_f32_16x16x32_fp8_fp8 v[224:227], a[226:227], v[154:155], v[224:227]// 00000000CA34: D3F300E0 0F8335E2
	v_mfma_f32_16x16x32_fp8_fp8 v[228:231], a[224:225], v[184:185], v[228:231]// 00000000CA3C: D3F300E4 0F9371E0
	v_mfma_f32_16x16x32_fp8_fp8 v[228:231], a[226:227], v[186:187], v[228:231]// 00000000CA44: D3F300E4 0F9375E2
	v_mfma_f32_16x16x32_fp8_fp8 v[232:235], a[228:229], v[152:153], v[232:235]// 00000000CA4C: D3F300E8 0FA331E4
	buffer_load_dwordx4 a[100:103], v43, s[12:15], 0 offen     // 00000000CA54: E05C1000 8083642B
	v_mfma_f32_16x16x32_fp8_fp8 v[232:235], a[230:231], v[154:155], v[232:235]// 00000000CA5C: D3F300E8 0FA335E6
	v_mfma_f32_16x16x32_fp8_fp8 v[236:239], a[228:229], v[184:185], v[236:239]// 00000000CA64: D3F300EC 0FB371E4
	v_mfma_f32_16x16x32_fp8_fp8 v[236:239], a[230:231], v[186:187], v[236:239]// 00000000CA6C: D3F300EC 0FB375E6
	v_mfma_f32_16x16x32_fp8_fp8 v[240:243], a[232:233], v[152:153], v[240:243]// 00000000CA74: D3F300F0 0FC331E8
	buffer_load_dwordx4 a[104:107], v44, s[12:15], 0 offen     // 00000000CA7C: E05C1000 8083682C
	v_mfma_f32_16x16x32_fp8_fp8 v[240:243], a[234:235], v[154:155], v[240:243]// 00000000CA84: D3F300F0 0FC335EA
	v_mfma_f32_16x16x32_fp8_fp8 v[244:247], a[232:233], v[184:185], v[244:247]// 00000000CA8C: D3F300F4 0FD371E8
	v_mfma_f32_16x16x32_fp8_fp8 v[244:247], a[234:235], v[186:187], v[244:247]// 00000000CA94: D3F300F4 0FD375EA
	v_mfma_f32_16x16x32_fp8_fp8 v[248:251], a[236:237], v[152:153], v[248:251]// 00000000CA9C: D3F300F8 0FE331EC
	buffer_load_dwordx4 a[108:111], v45, s[12:15], 0 offen     // 00000000CAA4: E05C1000 80836C2D
	s_add_u32 s12, s78, s12                                    // 00000000CAAC: 800C0C4E
	s_addc_u32 s13, 0, s13                                     // 00000000CAB0: 820D0D80
	v_mfma_f32_16x16x32_fp8_fp8 v[248:251], a[238:239], v[154:155], v[248:251]// 00000000CAB4: D3F300F8 0FE335EE
	v_mfma_f32_16x16x32_fp8_fp8 v[252:255], a[236:237], v[184:185], v[252:255]// 00000000CABC: D3F300FC 0FF371EC
	v_mfma_f32_16x16x32_fp8_fp8 v[252:255], a[238:239], v[186:187], v[252:255]// 00000000CAC4: D3F300FC 0FF375EE
	s_waitcnt vmcnt(44)                                        // 00000000CACC: BF8C8F7C
	v_mfma_f32_16x16x32_fp8_fp8 v[224:227], a[240:241], v[156:157], v[224:227]// 00000000CAD0: D3F300E0 0F8339F0
	buffer_load_dwordx4 a[112:115], v42, s[12:15], 0 offen     // 00000000CAD8: E05C1000 8083702A
	v_mfma_f32_16x16x32_fp8_fp8 v[224:227], a[242:243], v[158:159], v[224:227]// 00000000CAE0: D3F300E0 0F833DF2
	v_mfma_f32_16x16x32_fp8_fp8 v[228:231], a[240:241], v[188:189], v[228:231]// 00000000CAE8: D3F300E4 0F9379F0
	buffer_load_dword v12, v5, s[16:19], 0 offen               // 00000000CAF0: E0501000 80040C05
	v_mfma_f32_16x16x32_fp8_fp8 v[228:231], a[242:243], v[190:191], v[228:231]// 00000000CAF8: D3F300E4 0F937DF2
	v_mfma_f32_16x16x32_fp8_fp8 v[232:235], a[244:245], v[156:157], v[232:235]// 00000000CB00: D3F300E8 0FA339F4
	buffer_load_dwordx4 a[116:119], v43, s[12:15], 0 offen     // 00000000CB08: E05C1000 8083742B
	v_mfma_f32_16x16x32_fp8_fp8 v[232:235], a[246:247], v[158:159], v[232:235]// 00000000CB10: D3F300E8 0FA33DF6
	v_mfma_f32_16x16x32_fp8_fp8 v[236:239], a[244:245], v[188:189], v[236:239]// 00000000CB18: D3F300EC 0FB379F4
	v_mfma_f32_16x16x32_fp8_fp8 v[236:239], a[246:247], v[190:191], v[236:239]// 00000000CB20: D3F300EC 0FB37DF6
	v_mfma_f32_16x16x32_fp8_fp8 v[240:243], a[248:249], v[156:157], v[240:243]// 00000000CB28: D3F300F0 0FC339F8
	buffer_load_dwordx4 a[120:123], v44, s[12:15], 0 offen     // 00000000CB30: E05C1000 8083782C
	v_mfma_f32_16x16x32_fp8_fp8 v[240:243], a[250:251], v[158:159], v[240:243]// 00000000CB38: D3F300F0 0FC33DFA
	v_mfma_f32_16x16x32_fp8_fp8 v[244:247], a[248:249], v[188:189], v[244:247]// 00000000CB40: D3F300F4 0FD379F8
	v_mfma_f32_16x16x32_fp8_fp8 v[244:247], a[250:251], v[190:191], v[244:247]// 00000000CB48: D3F300F4 0FD37DFA
	v_mfma_f32_16x16x32_fp8_fp8 v[248:251], a[252:253], v[156:157], v[248:251]// 00000000CB50: D3F300F8 0FE339FC
	buffer_load_dwordx4 a[124:127], v45, s[12:15], 0 offen     // 00000000CB58: E05C1000 80837C2D
	v_mfma_f32_16x16x32_fp8_fp8 v[248:251], a[254:255], v[158:159], v[248:251]// 00000000CB60: D3F300F8 0FE33DFE
	v_mfma_f32_16x16x32_fp8_fp8 v[252:255], a[252:253], v[188:189], v[252:255]// 00000000CB68: D3F300FC 0FF379FC
	v_mfma_f32_16x16x32_fp8_fp8 v[252:255], a[254:255], v[190:191], v[252:255]// 00000000CB70: D3F300FC 0FF37DFE
	s_add_u32 s60, 0x200, s80                                  // 00000000CB78: 803C50FF 00000200
	s_cmp_lt_u32 s60, s81                                      // 00000000CB80: BF0A513C
	s_cselect_b32 s56, s56, 0                                  // 00000000CB84: 85388038
	s_cselect_b32 s78, s78, 0                                  // 00000000CB88: 854E804E
	s_cselect_b32 s79, s79, 0                                  // 00000000CB8C: 854F804F
	s_add_u32 s12, s56, s12                                    // 00000000CB90: 800C0C38
	s_addc_u32 s13, 0, s13                                     // 00000000CB94: 820D0D80
	s_add_u32 s16, s79, s16                                    // 00000000CB98: 8010104F
	s_addc_u32 s17, 0, s17                                     // 00000000CB9C: 82111180
	v_mul_f32_e32 v224, v24, v224                              // 00000000CBA0: 0BC1C118
	v_mul_f32_e32 v225, v24, v225                              // 00000000CBA4: 0BC3C318
	v_mul_f32_e32 v226, v24, v226                              // 00000000CBA8: 0BC5C518
	v_mul_f32_e32 v227, v24, v227                              // 00000000CBAC: 0BC7C718
	v_mul_f32_dpp v224, v13, v224 row_newbcast:0 row_mask:0xf bank_mask:0xf// 00000000CBB0: 0BC1C0FA FF01500D
	v_mul_f32_dpp v225, v13, v225 row_newbcast:1 row_mask:0xf bank_mask:0xf// 00000000CBB8: 0BC3C2FA FF01510D
	v_mul_f32_dpp v226, v13, v226 row_newbcast:2 row_mask:0xf bank_mask:0xf// 00000000CBC0: 0BC5C4FA FF01520D
	v_mul_f32_dpp v227, v13, v227 row_newbcast:3 row_mask:0xf bank_mask:0xf// 00000000CBC8: 0BC7C6FA FF01530D
	v_mul_f32_e32 v224, v20, v224                              // 00000000CBD0: 0BC1C114
	v_mul_f32_e32 v225, v20, v225                              // 00000000CBD4: 0BC3C314
	v_mul_f32_e32 v226, v20, v226                              // 00000000CBD8: 0BC5C514
	v_mul_f32_e32 v227, v20, v227                              // 00000000CBDC: 0BC7C714
	v_mul_f32_e32 v228, v25, v228                              // 00000000CBE0: 0BC9C919
	v_mul_f32_e32 v229, v25, v229                              // 00000000CBE4: 0BCBCB19
	v_mul_f32_e32 v230, v25, v230                              // 00000000CBE8: 0BCDCD19
	v_mul_f32_e32 v231, v25, v231                              // 00000000CBEC: 0BCFCF19
	v_mul_f32_dpp v228, v13, v228 row_newbcast:0 row_mask:0xf bank_mask:0xf// 00000000CBF0: 0BC9C8FA FF01500D
	v_mul_f32_dpp v229, v13, v229 row_newbcast:1 row_mask:0xf bank_mask:0xf// 00000000CBF8: 0BCBCAFA FF01510D
	v_mul_f32_dpp v230, v13, v230 row_newbcast:2 row_mask:0xf bank_mask:0xf// 00000000CC00: 0BCDCCFA FF01520D
	v_mul_f32_dpp v231, v13, v231 row_newbcast:3 row_mask:0xf bank_mask:0xf// 00000000CC08: 0BCFCEFA FF01530D
	v_mul_f32_e32 v228, v21, v228                              // 00000000CC10: 0BC9C915
	v_mul_f32_e32 v229, v21, v229                              // 00000000CC14: 0BCBCB15
	v_mul_f32_e32 v230, v21, v230                              // 00000000CC18: 0BCDCD15
	v_mul_f32_e32 v231, v21, v231                              // 00000000CC1C: 0BCFCF15
	v_mul_f32_e32 v232, v24, v232                              // 00000000CC20: 0BD1D118
	v_mul_f32_e32 v233, v24, v233                              // 00000000CC24: 0BD3D318
	v_mul_f32_e32 v234, v24, v234                              // 00000000CC28: 0BD5D518
	v_mul_f32_e32 v235, v24, v235                              // 00000000CC2C: 0BD7D718
	v_mul_f32_dpp v232, v13, v232 row_newbcast:4 row_mask:0xf bank_mask:0xf// 00000000CC30: 0BD1D0FA FF01540D
	v_mul_f32_dpp v233, v13, v233 row_newbcast:5 row_mask:0xf bank_mask:0xf// 00000000CC38: 0BD3D2FA FF01550D
	v_mul_f32_dpp v234, v13, v234 row_newbcast:6 row_mask:0xf bank_mask:0xf// 00000000CC40: 0BD5D4FA FF01560D
	v_mul_f32_dpp v235, v13, v235 row_newbcast:7 row_mask:0xf bank_mask:0xf// 00000000CC48: 0BD7D6FA FF01570D
	v_mul_f32_e32 v232, v20, v232                              // 00000000CC50: 0BD1D114
	v_mul_f32_e32 v233, v20, v233                              // 00000000CC54: 0BD3D314
	v_mul_f32_e32 v234, v20, v234                              // 00000000CC58: 0BD5D514
	v_mul_f32_e32 v235, v20, v235                              // 00000000CC5C: 0BD7D714
	v_mul_f32_e32 v236, v25, v236                              // 00000000CC60: 0BD9D919
	v_mul_f32_e32 v237, v25, v237                              // 00000000CC64: 0BDBDB19
	v_mul_f32_e32 v238, v25, v238                              // 00000000CC68: 0BDDDD19
	v_mul_f32_e32 v239, v25, v239                              // 00000000CC6C: 0BDFDF19
	v_mul_f32_dpp v236, v13, v236 row_newbcast:4 row_mask:0xf bank_mask:0xf// 00000000CC70: 0BD9D8FA FF01540D
	v_mul_f32_dpp v237, v13, v237 row_newbcast:5 row_mask:0xf bank_mask:0xf// 00000000CC78: 0BDBDAFA FF01550D
	v_mul_f32_dpp v238, v13, v238 row_newbcast:6 row_mask:0xf bank_mask:0xf// 00000000CC80: 0BDDDCFA FF01560D
	v_mul_f32_dpp v239, v13, v239 row_newbcast:7 row_mask:0xf bank_mask:0xf// 00000000CC88: 0BDFDEFA FF01570D
	v_mul_f32_e32 v236, v21, v236                              // 00000000CC90: 0BD9D915
	v_mul_f32_e32 v237, v21, v237                              // 00000000CC94: 0BDBDB15
	v_mul_f32_e32 v238, v21, v238                              // 00000000CC98: 0BDDDD15
	v_mul_f32_e32 v239, v21, v239                              // 00000000CC9C: 0BDFDF15
	v_mul_f32_e32 v240, v24, v240                              // 00000000CCA0: 0BE1E118
	v_mul_f32_e32 v241, v24, v241                              // 00000000CCA4: 0BE3E318
	v_mul_f32_e32 v242, v24, v242                              // 00000000CCA8: 0BE5E518
	v_mul_f32_e32 v243, v24, v243                              // 00000000CCAC: 0BE7E718
	v_mul_f32_dpp v240, v13, v240 row_newbcast:8 row_mask:0xf bank_mask:0xf// 00000000CCB0: 0BE1E0FA FF01580D
	v_mul_f32_dpp v241, v13, v241 row_newbcast:9 row_mask:0xf bank_mask:0xf// 00000000CCB8: 0BE3E2FA FF01590D
	v_mul_f32_dpp v242, v13, v242 row_newbcast:10 row_mask:0xf bank_mask:0xf// 00000000CCC0: 0BE5E4FA FF015A0D
	v_mul_f32_dpp v243, v13, v243 row_newbcast:11 row_mask:0xf bank_mask:0xf// 00000000CCC8: 0BE7E6FA FF015B0D
	v_mul_f32_e32 v240, v20, v240                              // 00000000CCD0: 0BE1E114
	v_mul_f32_e32 v241, v20, v241                              // 00000000CCD4: 0BE3E314
	v_mul_f32_e32 v242, v20, v242                              // 00000000CCD8: 0BE5E514
	v_mul_f32_e32 v243, v20, v243                              // 00000000CCDC: 0BE7E714
	v_mul_f32_e32 v244, v25, v244                              // 00000000CCE0: 0BE9E919
	v_mul_f32_e32 v245, v25, v245                              // 00000000CCE4: 0BEBEB19
	v_mul_f32_e32 v246, v25, v246                              // 00000000CCE8: 0BEDED19
	v_mul_f32_e32 v247, v25, v247                              // 00000000CCEC: 0BEFEF19
	v_mul_f32_dpp v244, v13, v244 row_newbcast:8 row_mask:0xf bank_mask:0xf// 00000000CCF0: 0BE9E8FA FF01580D
	v_mul_f32_dpp v245, v13, v245 row_newbcast:9 row_mask:0xf bank_mask:0xf// 00000000CCF8: 0BEBEAFA FF01590D
	v_mul_f32_dpp v246, v13, v246 row_newbcast:10 row_mask:0xf bank_mask:0xf// 00000000CD00: 0BEDECFA FF015A0D
	v_mul_f32_dpp v247, v13, v247 row_newbcast:11 row_mask:0xf bank_mask:0xf// 00000000CD08: 0BEFEEFA FF015B0D
	v_mul_f32_e32 v244, v21, v244                              // 00000000CD10: 0BE9E915
	v_mul_f32_e32 v245, v21, v245                              // 00000000CD14: 0BEBEB15
	v_mul_f32_e32 v246, v21, v246                              // 00000000CD18: 0BEDED15
	v_mul_f32_e32 v247, v21, v247                              // 00000000CD1C: 0BEFEF15
	v_mul_f32_e32 v248, v24, v248                              // 00000000CD20: 0BF1F118
	v_mul_f32_e32 v249, v24, v249                              // 00000000CD24: 0BF3F318
	v_mul_f32_e32 v250, v24, v250                              // 00000000CD28: 0BF5F518
	v_mul_f32_e32 v251, v24, v251                              // 00000000CD2C: 0BF7F718
	v_mul_f32_dpp v248, v13, v248 row_newbcast:12 row_mask:0xf bank_mask:0xf// 00000000CD30: 0BF1F0FA FF015C0D
	v_mul_f32_dpp v249, v13, v249 row_newbcast:13 row_mask:0xf bank_mask:0xf// 00000000CD38: 0BF3F2FA FF015D0D
	v_mul_f32_dpp v250, v13, v250 row_newbcast:14 row_mask:0xf bank_mask:0xf// 00000000CD40: 0BF5F4FA FF015E0D
	v_mul_f32_dpp v251, v13, v251 row_newbcast:15 row_mask:0xf bank_mask:0xf// 00000000CD48: 0BF7F6FA FF015F0D
	v_mul_f32_e32 v248, v20, v248                              // 00000000CD50: 0BF1F114
	v_mul_f32_e32 v249, v20, v249                              // 00000000CD54: 0BF3F314
	v_mul_f32_e32 v250, v20, v250                              // 00000000CD58: 0BF5F514
	v_mul_f32_e32 v251, v20, v251                              // 00000000CD5C: 0BF7F714
	v_mul_f32_e32 v252, v25, v252                              // 00000000CD60: 0BF9F919
	v_mul_f32_e32 v253, v25, v253                              // 00000000CD64: 0BFBFB19
	v_mul_f32_e32 v254, v25, v254                              // 00000000CD68: 0BFDFD19
	v_mul_f32_e32 v255, v25, v255                              // 00000000CD6C: 0BFFFF19
	v_mul_f32_dpp v252, v13, v252 row_newbcast:12 row_mask:0xf bank_mask:0xf// 00000000CD70: 0BF9F8FA FF015C0D
	v_mul_f32_dpp v253, v13, v253 row_newbcast:13 row_mask:0xf bank_mask:0xf// 00000000CD78: 0BFBFAFA FF015D0D
	v_mul_f32_dpp v254, v13, v254 row_newbcast:14 row_mask:0xf bank_mask:0xf// 00000000CD80: 0BFDFCFA FF015E0D
	v_mul_f32_dpp v255, v13, v255 row_newbcast:15 row_mask:0xf bank_mask:0xf// 00000000CD88: 0BFFFEFA FF015F0D
	v_mul_f32_e32 v252, v21, v252                              // 00000000CD90: 0BF9F915
	v_mul_f32_e32 v253, v21, v253                              // 00000000CD94: 0BFBFB15
	v_mul_f32_e32 v254, v21, v254                              // 00000000CD98: 0BFDFD15
	v_mul_f32_e32 v255, v21, v255                              // 00000000CD9C: 0BFFFF15
	v_cmp_u_f32_e64 s[48:49], v224, v224                       // 00000000CDA0: D0480030 0003C1E0
	v_add3_u32 v46, v224, v49, 1                               // 00000000CDA8: D1FF002E 020663E0
	v_cndmask_b32_e64 v52, v46, v48, s[48:49]                  // 00000000CDB0: D1000034 00C2612E
	v_cmp_u_f32_e64 s[48:49], v225, v225                       // 00000000CDB8: D0480030 0003C3E1
	v_add3_u32 v46, v225, v49, 1                               // 00000000CDC0: D1FF002E 020663E1
	v_cndmask_b32_e64 v53, v46, v48, s[48:49]                  // 00000000CDC8: D1000035 00C2612E
	v_perm_b32 v224, v53, v52, s52                             // 00000000CDD0: D1ED00E0 00D26935
	v_cmp_u_f32_e64 s[48:49], v226, v226                       // 00000000CDD8: D0480030 0003C5E2
	v_add3_u32 v46, v226, v49, 1                               // 00000000CDE0: D1FF002E 020663E2
	v_cndmask_b32_e64 v52, v46, v48, s[48:49]                  // 00000000CDE8: D1000034 00C2612E
	v_cmp_u_f32_e64 s[48:49], v227, v227                       // 00000000CDF0: D0480030 0003C7E3
	v_add3_u32 v46, v227, v49, 1                               // 00000000CDF8: D1FF002E 020663E3
	v_cndmask_b32_e64 v53, v46, v48, s[48:49]                  // 00000000CE00: D1000035 00C2612E
	v_perm_b32 v225, v53, v52, s52                             // 00000000CE08: D1ED00E1 00D26935
	v_cmp_u_f32_e64 s[48:49], v228, v228                       // 00000000CE10: D0480030 0003C9E4
	v_add3_u32 v46, v228, v49, 1                               // 00000000CE18: D1FF002E 020663E4
	v_cndmask_b32_e64 v52, v46, v48, s[48:49]                  // 00000000CE20: D1000034 00C2612E
	v_cmp_u_f32_e64 s[48:49], v229, v229                       // 00000000CE28: D0480030 0003CBE5
	v_add3_u32 v46, v229, v49, 1                               // 00000000CE30: D1FF002E 020663E5
	v_cndmask_b32_e64 v53, v46, v48, s[48:49]                  // 00000000CE38: D1000035 00C2612E
	v_perm_b32 v226, v53, v52, s52                             // 00000000CE40: D1ED00E2 00D26935
	v_cmp_u_f32_e64 s[48:49], v230, v230                       // 00000000CE48: D0480030 0003CDE6
	v_add3_u32 v46, v230, v49, 1                               // 00000000CE50: D1FF002E 020663E6
	v_cndmask_b32_e64 v52, v46, v48, s[48:49]                  // 00000000CE58: D1000034 00C2612E
	v_cmp_u_f32_e64 s[48:49], v231, v231                       // 00000000CE60: D0480030 0003CFE7
	v_add3_u32 v46, v231, v49, 1                               // 00000000CE68: D1FF002E 020663E7
	v_cndmask_b32_e64 v53, v46, v48, s[48:49]                  // 00000000CE70: D1000035 00C2612E
	v_perm_b32 v227, v53, v52, s52                             // 00000000CE78: D1ED00E3 00D26935
	v_cmp_u_f32_e64 s[48:49], v232, v232                       // 00000000CE80: D0480030 0003D1E8
	v_add3_u32 v46, v232, v49, 1                               // 00000000CE88: D1FF002E 020663E8
	v_cndmask_b32_e64 v52, v46, v48, s[48:49]                  // 00000000CE90: D1000034 00C2612E
	v_cmp_u_f32_e64 s[48:49], v233, v233                       // 00000000CE98: D0480030 0003D3E9
	v_add3_u32 v46, v233, v49, 1                               // 00000000CEA0: D1FF002E 020663E9
	v_cndmask_b32_e64 v53, v46, v48, s[48:49]                  // 00000000CEA8: D1000035 00C2612E
	v_perm_b32 v228, v53, v52, s52                             // 00000000CEB0: D1ED00E4 00D26935
	v_cmp_u_f32_e64 s[48:49], v234, v234                       // 00000000CEB8: D0480030 0003D5EA
	v_add3_u32 v46, v234, v49, 1                               // 00000000CEC0: D1FF002E 020663EA
	v_cndmask_b32_e64 v52, v46, v48, s[48:49]                  // 00000000CEC8: D1000034 00C2612E
	v_cmp_u_f32_e64 s[48:49], v235, v235                       // 00000000CED0: D0480030 0003D7EB
	v_add3_u32 v46, v235, v49, 1                               // 00000000CED8: D1FF002E 020663EB
	v_cndmask_b32_e64 v53, v46, v48, s[48:49]                  // 00000000CEE0: D1000035 00C2612E
	v_perm_b32 v229, v53, v52, s52                             // 00000000CEE8: D1ED00E5 00D26935
	v_cmp_u_f32_e64 s[48:49], v236, v236                       // 00000000CEF0: D0480030 0003D9EC
	v_add3_u32 v46, v236, v49, 1                               // 00000000CEF8: D1FF002E 020663EC
	v_cndmask_b32_e64 v52, v46, v48, s[48:49]                  // 00000000CF00: D1000034 00C2612E
	v_cmp_u_f32_e64 s[48:49], v237, v237                       // 00000000CF08: D0480030 0003DBED
	v_add3_u32 v46, v237, v49, 1                               // 00000000CF10: D1FF002E 020663ED
	v_cndmask_b32_e64 v53, v46, v48, s[48:49]                  // 00000000CF18: D1000035 00C2612E
	v_perm_b32 v230, v53, v52, s52                             // 00000000CF20: D1ED00E6 00D26935
	v_cmp_u_f32_e64 s[48:49], v238, v238                       // 00000000CF28: D0480030 0003DDEE
	v_add3_u32 v46, v238, v49, 1                               // 00000000CF30: D1FF002E 020663EE
	v_cndmask_b32_e64 v52, v46, v48, s[48:49]                  // 00000000CF38: D1000034 00C2612E
	v_cmp_u_f32_e64 s[48:49], v239, v239                       // 00000000CF40: D0480030 0003DFEF
	v_add3_u32 v46, v239, v49, 1                               // 00000000CF48: D1FF002E 020663EF
	v_cndmask_b32_e64 v53, v46, v48, s[48:49]                  // 00000000CF50: D1000035 00C2612E
	v_perm_b32 v231, v53, v52, s52                             // 00000000CF58: D1ED00E7 00D26935
	v_cmp_u_f32_e64 s[48:49], v240, v240                       // 00000000CF60: D0480030 0003E1F0
	v_add3_u32 v46, v240, v49, 1                               // 00000000CF68: D1FF002E 020663F0
	v_cndmask_b32_e64 v52, v46, v48, s[48:49]                  // 00000000CF70: D1000034 00C2612E
	v_cmp_u_f32_e64 s[48:49], v241, v241                       // 00000000CF78: D0480030 0003E3F1
	v_add3_u32 v46, v241, v49, 1                               // 00000000CF80: D1FF002E 020663F1
	v_cndmask_b32_e64 v53, v46, v48, s[48:49]                  // 00000000CF88: D1000035 00C2612E
	v_perm_b32 v232, v53, v52, s52                             // 00000000CF90: D1ED00E8 00D26935
	v_cmp_u_f32_e64 s[48:49], v242, v242                       // 00000000CF98: D0480030 0003E5F2
	v_add3_u32 v46, v242, v49, 1                               // 00000000CFA0: D1FF002E 020663F2
	v_cndmask_b32_e64 v52, v46, v48, s[48:49]                  // 00000000CFA8: D1000034 00C2612E
	v_cmp_u_f32_e64 s[48:49], v243, v243                       // 00000000CFB0: D0480030 0003E7F3
	v_add3_u32 v46, v243, v49, 1                               // 00000000CFB8: D1FF002E 020663F3
	v_cndmask_b32_e64 v53, v46, v48, s[48:49]                  // 00000000CFC0: D1000035 00C2612E
	v_perm_b32 v233, v53, v52, s52                             // 00000000CFC8: D1ED00E9 00D26935
	v_cmp_u_f32_e64 s[48:49], v244, v244                       // 00000000CFD0: D0480030 0003E9F4
	v_add3_u32 v46, v244, v49, 1                               // 00000000CFD8: D1FF002E 020663F4
	v_cndmask_b32_e64 v52, v46, v48, s[48:49]                  // 00000000CFE0: D1000034 00C2612E
	v_cmp_u_f32_e64 s[48:49], v245, v245                       // 00000000CFE8: D0480030 0003EBF5
	v_add3_u32 v46, v245, v49, 1                               // 00000000CFF0: D1FF002E 020663F5
	v_cndmask_b32_e64 v53, v46, v48, s[48:49]                  // 00000000CFF8: D1000035 00C2612E
	v_perm_b32 v234, v53, v52, s52                             // 00000000D000: D1ED00EA 00D26935
	v_cmp_u_f32_e64 s[48:49], v246, v246                       // 00000000D008: D0480030 0003EDF6
	v_add3_u32 v46, v246, v49, 1                               // 00000000D010: D1FF002E 020663F6
	v_cndmask_b32_e64 v52, v46, v48, s[48:49]                  // 00000000D018: D1000034 00C2612E
	v_cmp_u_f32_e64 s[48:49], v247, v247                       // 00000000D020: D0480030 0003EFF7
	v_add3_u32 v46, v247, v49, 1                               // 00000000D028: D1FF002E 020663F7
	v_cndmask_b32_e64 v53, v46, v48, s[48:49]                  // 00000000D030: D1000035 00C2612E
	v_perm_b32 v235, v53, v52, s52                             // 00000000D038: D1ED00EB 00D26935
	v_cmp_u_f32_e64 s[48:49], v248, v248                       // 00000000D040: D0480030 0003F1F8
	v_add3_u32 v46, v248, v49, 1                               // 00000000D048: D1FF002E 020663F8
	v_cndmask_b32_e64 v52, v46, v48, s[48:49]                  // 00000000D050: D1000034 00C2612E
	v_cmp_u_f32_e64 s[48:49], v249, v249                       // 00000000D058: D0480030 0003F3F9
	v_add3_u32 v46, v249, v49, 1                               // 00000000D060: D1FF002E 020663F9
	v_cndmask_b32_e64 v53, v46, v48, s[48:49]                  // 00000000D068: D1000035 00C2612E
	v_perm_b32 v236, v53, v52, s52                             // 00000000D070: D1ED00EC 00D26935
	v_cmp_u_f32_e64 s[48:49], v250, v250                       // 00000000D078: D0480030 0003F5FA
	v_add3_u32 v46, v250, v49, 1                               // 00000000D080: D1FF002E 020663FA
	v_cndmask_b32_e64 v52, v46, v48, s[48:49]                  // 00000000D088: D1000034 00C2612E
	v_cmp_u_f32_e64 s[48:49], v251, v251                       // 00000000D090: D0480030 0003F7FB
	v_add3_u32 v46, v251, v49, 1                               // 00000000D098: D1FF002E 020663FB
	v_cndmask_b32_e64 v53, v46, v48, s[48:49]                  // 00000000D0A0: D1000035 00C2612E
	v_perm_b32 v237, v53, v52, s52                             // 00000000D0A8: D1ED00ED 00D26935
	v_cmp_u_f32_e64 s[48:49], v252, v252                       // 00000000D0B0: D0480030 0003F9FC
	v_add3_u32 v46, v252, v49, 1                               // 00000000D0B8: D1FF002E 020663FC
	v_cndmask_b32_e64 v52, v46, v48, s[48:49]                  // 00000000D0C0: D1000034 00C2612E
	v_cmp_u_f32_e64 s[48:49], v253, v253                       // 00000000D0C8: D0480030 0003FBFD
	v_add3_u32 v46, v253, v49, 1                               // 00000000D0D0: D1FF002E 020663FD
	v_cndmask_b32_e64 v53, v46, v48, s[48:49]                  // 00000000D0D8: D1000035 00C2612E
	v_perm_b32 v238, v53, v52, s52                             // 00000000D0E0: D1ED00EE 00D26935
	v_cmp_u_f32_e64 s[48:49], v254, v254                       // 00000000D0E8: D0480030 0003FDFE
	v_add3_u32 v46, v254, v49, 1                               // 00000000D0F0: D1FF002E 020663FE
	v_cndmask_b32_e64 v52, v46, v48, s[48:49]                  // 00000000D0F8: D1000034 00C2612E
	v_cmp_u_f32_e64 s[48:49], v255, v255                       // 00000000D100: D0480030 0003FFFF
	v_add3_u32 v46, v255, v49, 1                               // 00000000D108: D1FF002E 020663FF
	v_cndmask_b32_e64 v53, v46, v48, s[48:49]                  // 00000000D110: D1000035 00C2612E
	v_perm_b32 v239, v53, v52, s52                             // 00000000D118: D1ED00EF 00D26935
	ds_write_b64 v3, v[224:225] offset:35072                   // 00000000D120: D89A8900 0000E003
	ds_write_b64 v3, v[226:227] offset:43776                   // 00000000D128: D89AAB00 0000E203
	ds_write_b64 v3, v[228:229] offset:37248                   // 00000000D130: D89A9180 0000E403
	ds_write_b64 v3, v[230:231] offset:45952                   // 00000000D138: D89AB380 0000E603
	ds_write_b64 v3, v[232:233] offset:39424                   // 00000000D140: D89A9A00 0000E803
	ds_write_b64 v3, v[234:235] offset:48128                   // 00000000D148: D89ABC00 0000EA03
	ds_write_b64 v3, v[236:237] offset:41600                   // 00000000D150: D89AA280 0000EC03
	ds_write_b64 v3, v[238:239] offset:50304                   // 00000000D158: D89AC480 0000EE03
	s_waitcnt lgkmcnt(0)                                       // 00000000D160: BF8CC07F
	s_barrier                                                  // 00000000D164: BF8A0000
	ds_read_b32 v64, v4 offset:35072                           // 00000000D168: D86C8900 40000004
	ds_read_b32 v65, v4 offset:39424                           // 00000000D170: D86C9A00 41000004
	ds_read_b32 v66, v4 offset:35104                           // 00000000D178: D86C8920 42000004
	ds_read_b32 v67, v4 offset:39456                           // 00000000D180: D86C9A20 43000004
	ds_read_b32 v68, v4 offset:35136                           // 00000000D188: D86C8940 44000004
	ds_read_b32 v69, v4 offset:39488                           // 00000000D190: D86C9A40 45000004
	ds_read_b32 v70, v4 offset:35168                           // 00000000D198: D86C8960 46000004
	ds_read_b32 v71, v4 offset:39520                           // 00000000D1A0: D86C9A60 47000004
	ds_read_b32 v72, v4 offset:43776                           // 00000000D1A8: D86CAB00 48000004
	ds_read_b32 v73, v4 offset:48128                           // 00000000D1B0: D86CBC00 49000004
	ds_read_b32 v74, v4 offset:43808                           // 00000000D1B8: D86CAB20 4A000004
	ds_read_b32 v75, v4 offset:48160                           // 00000000D1C0: D86CBC20 4B000004
	ds_read_b32 v76, v4 offset:43840                           // 00000000D1C8: D86CAB40 4C000004
	ds_read_b32 v77, v4 offset:48192                           // 00000000D1D0: D86CBC40 4D000004
	ds_read_b32 v78, v4 offset:43872                           // 00000000D1D8: D86CAB60 4E000004
	ds_read_b32 v79, v4 offset:48224                           // 00000000D1E0: D86CBC60 4F000004
	s_waitcnt lgkmcnt(0)                                       // 00000000D1E8: BF8CC07F
	s_mov_b64 exec, s[20:21]                                   // 00000000D1EC: BEFE0114
	global_atomic_pk_add_bf16 v80, v64, s[8:9]                 // 00000000D1F0: DD488000 00084050
	s_mov_b64 exec, s[36:37]                                   // 00000000D1F8: BEFE0124
	s_mov_b64 exec, s[20:21]                                   // 00000000D1FC: BEFE0114
	global_atomic_pk_add_bf16 v80, v65, s[8:9] offset:256      // 00000000D200: DD488100 00084150
	s_mov_b64 exec, s[36:37]                                   // 00000000D208: BEFE0124
	s_mov_b64 exec, s[22:23]                                   // 00000000D20C: BEFE0116
	global_atomic_pk_add_bf16 v82, v66, s[8:9]                 // 00000000D210: DD488000 00084252
	s_mov_b64 exec, s[36:37]                                   // 00000000D218: BEFE0124
	s_mov_b64 exec, s[22:23]                                   // 00000000D21C: BEFE0116
	global_atomic_pk_add_bf16 v82, v67, s[8:9] offset:256      // 00000000D220: DD488100 00084352
	s_mov_b64 exec, s[36:37]                                   // 00000000D228: BEFE0124
	s_mov_b64 exec, s[24:25]                                   // 00000000D22C: BEFE0118
	global_atomic_pk_add_bf16 v84, v68, s[8:9]                 // 00000000D230: DD488000 00084454
	s_mov_b64 exec, s[36:37]                                   // 00000000D238: BEFE0124
	s_mov_b64 exec, s[24:25]                                   // 00000000D23C: BEFE0118
	global_atomic_pk_add_bf16 v84, v69, s[8:9] offset:256      // 00000000D240: DD488100 00084554
	s_mov_b64 exec, s[36:37]                                   // 00000000D248: BEFE0124
	s_mov_b64 exec, s[26:27]                                   // 00000000D24C: BEFE011A
	global_atomic_pk_add_bf16 v86, v70, s[8:9]                 // 00000000D250: DD488000 00084656
	s_mov_b64 exec, s[36:37]                                   // 00000000D258: BEFE0124
	s_mov_b64 exec, s[26:27]                                   // 00000000D25C: BEFE011A
	global_atomic_pk_add_bf16 v86, v71, s[8:9] offset:256      // 00000000D260: DD488100 00084756
	s_mov_b64 exec, s[36:37]                                   // 00000000D268: BEFE0124
	s_mov_b64 exec, s[28:29]                                   // 00000000D26C: BEFE011C
	global_atomic_pk_add_bf16 v88, v72, s[8:9]                 // 00000000D270: DD488000 00084858
	s_mov_b64 exec, s[36:37]                                   // 00000000D278: BEFE0124
	s_mov_b64 exec, s[28:29]                                   // 00000000D27C: BEFE011C
	global_atomic_pk_add_bf16 v88, v73, s[8:9] offset:256      // 00000000D280: DD488100 00084958
	s_mov_b64 exec, s[36:37]                                   // 00000000D288: BEFE0124
	s_mov_b64 exec, s[30:31]                                   // 00000000D28C: BEFE011E
	global_atomic_pk_add_bf16 v90, v74, s[8:9]                 // 00000000D290: DD488000 00084A5A
	s_mov_b64 exec, s[36:37]                                   // 00000000D298: BEFE0124
	s_mov_b64 exec, s[30:31]                                   // 00000000D29C: BEFE011E
	global_atomic_pk_add_bf16 v90, v75, s[8:9] offset:256      // 00000000D2A0: DD488100 00084B5A
	s_mov_b64 exec, s[36:37]                                   // 00000000D2A8: BEFE0124
	s_mov_b64 exec, s[32:33]                                   // 00000000D2AC: BEFE0120
	global_atomic_pk_add_bf16 v92, v76, s[8:9]                 // 00000000D2B0: DD488000 00084C5C
	s_mov_b64 exec, s[36:37]                                   // 00000000D2B8: BEFE0124
	s_mov_b64 exec, s[32:33]                                   // 00000000D2BC: BEFE0120
	global_atomic_pk_add_bf16 v92, v77, s[8:9] offset:256      // 00000000D2C0: DD488100 00084D5C
	s_mov_b64 exec, s[36:37]                                   // 00000000D2C8: BEFE0124
	s_mov_b64 exec, s[34:35]                                   // 00000000D2CC: BEFE0122
	global_atomic_pk_add_bf16 v94, v78, s[8:9]                 // 00000000D2D0: DD488000 00084E5E
	s_mov_b64 exec, s[36:37]                                   // 00000000D2D8: BEFE0124
	s_mov_b64 exec, s[34:35]                                   // 00000000D2DC: BEFE0122
	global_atomic_pk_add_bf16 v94, v79, s[8:9] offset:256      // 00000000D2E0: DD488100 00084F5E
	s_mov_b64 exec, s[36:37]                                   // 00000000D2E8: BEFE0124
	s_add_u32 s8, s59, s8                                      // 00000000D2EC: 8008083B
	s_addc_u32 s9, 0, s9                                       // 00000000D2F0: 82090980
	s_addk_i32 s80, 0x100                                      // 00000000D2F4: B7500100
	s_cmp_lt_i32 s80, s81                                      // 00000000D2F8: BF045150
	s_cbranch_scc0 label_1608                                  // 00000000D2FC: BF84ECC8
	s_branch label_22CA                                        // 00000000D300: BF82F989

000000000000d304 <label_2941>:
	s_waitcnt vmcnt(0) expcnt(0) lgkmcnt(0)                    // 00000000D304: BF8C0000
	s_endpgm                                                   // 00000000D308: BF810000
